;; amdgpu-corpus repo=ROCm/rocFFT kind=compiled arch=gfx906 opt=O3
	.text
	.amdgcn_target "amdgcn-amd-amdhsa--gfx906"
	.amdhsa_code_object_version 6
	.protected	fft_rtc_fwd_len1600_factors_10_16_10_wgs_200_tpt_100_halfLds_dp_op_CI_CI_unitstride_sbrr_R2C_dirReg ; -- Begin function fft_rtc_fwd_len1600_factors_10_16_10_wgs_200_tpt_100_halfLds_dp_op_CI_CI_unitstride_sbrr_R2C_dirReg
	.globl	fft_rtc_fwd_len1600_factors_10_16_10_wgs_200_tpt_100_halfLds_dp_op_CI_CI_unitstride_sbrr_R2C_dirReg
	.p2align	8
	.type	fft_rtc_fwd_len1600_factors_10_16_10_wgs_200_tpt_100_halfLds_dp_op_CI_CI_unitstride_sbrr_R2C_dirReg,@function
fft_rtc_fwd_len1600_factors_10_16_10_wgs_200_tpt_100_halfLds_dp_op_CI_CI_unitstride_sbrr_R2C_dirReg: ; @fft_rtc_fwd_len1600_factors_10_16_10_wgs_200_tpt_100_halfLds_dp_op_CI_CI_unitstride_sbrr_R2C_dirReg
; %bb.0:
	s_load_dwordx4 s[8:11], s[4:5], 0x58
	s_load_dwordx4 s[12:15], s[4:5], 0x0
	;; [unrolled: 1-line block ×3, first 2 shown]
	v_mul_u32_u24_e32 v1, 0x290, v0
	v_lshrrev_b32_e32 v7, 16, v1
	v_mov_b32_e32 v3, 0
	s_waitcnt lgkmcnt(0)
	v_cmp_lt_u64_e64 s[0:1], s[14:15], 2
	v_mov_b32_e32 v1, 0
	v_lshl_add_u32 v5, s6, 1, v7
	v_mov_b32_e32 v6, v3
	s_and_b64 vcc, exec, s[0:1]
	v_mov_b32_e32 v2, 0
	s_cbranch_vccnz .LBB0_8
; %bb.1:
	s_load_dwordx2 s[0:1], s[4:5], 0x10
	s_add_u32 s2, s18, 8
	s_addc_u32 s3, s19, 0
	s_add_u32 s6, s16, 8
	v_mov_b32_e32 v1, 0
	s_addc_u32 s7, s17, 0
	v_mov_b32_e32 v2, 0
	s_waitcnt lgkmcnt(0)
	s_add_u32 s20, s0, 8
	v_mov_b32_e32 v81, v2
	s_addc_u32 s21, s1, 0
	s_mov_b64 s[22:23], 1
	v_mov_b32_e32 v80, v1
.LBB0_2:                                ; =>This Inner Loop Header: Depth=1
	s_load_dwordx2 s[24:25], s[20:21], 0x0
                                        ; implicit-def: $vgpr84_vgpr85
	s_waitcnt lgkmcnt(0)
	v_or_b32_e32 v4, s25, v6
	v_cmp_ne_u64_e32 vcc, 0, v[3:4]
	s_and_saveexec_b64 s[0:1], vcc
	s_xor_b64 s[26:27], exec, s[0:1]
	s_cbranch_execz .LBB0_4
; %bb.3:                                ;   in Loop: Header=BB0_2 Depth=1
	v_cvt_f32_u32_e32 v4, s24
	v_cvt_f32_u32_e32 v8, s25
	s_sub_u32 s0, 0, s24
	s_subb_u32 s1, 0, s25
	v_mac_f32_e32 v4, 0x4f800000, v8
	v_rcp_f32_e32 v4, v4
	v_mul_f32_e32 v4, 0x5f7ffffc, v4
	v_mul_f32_e32 v8, 0x2f800000, v4
	v_trunc_f32_e32 v8, v8
	v_mac_f32_e32 v4, 0xcf800000, v8
	v_cvt_u32_f32_e32 v8, v8
	v_cvt_u32_f32_e32 v4, v4
	v_mul_lo_u32 v9, s0, v8
	v_mul_hi_u32 v10, s0, v4
	v_mul_lo_u32 v12, s1, v4
	v_mul_lo_u32 v11, s0, v4
	v_add_u32_e32 v9, v10, v9
	v_add_u32_e32 v9, v9, v12
	v_mul_hi_u32 v10, v4, v11
	v_mul_lo_u32 v12, v4, v9
	v_mul_hi_u32 v14, v4, v9
	v_mul_hi_u32 v13, v8, v11
	v_mul_lo_u32 v11, v8, v11
	v_mul_hi_u32 v15, v8, v9
	v_add_co_u32_e32 v10, vcc, v10, v12
	v_addc_co_u32_e32 v12, vcc, 0, v14, vcc
	v_mul_lo_u32 v9, v8, v9
	v_add_co_u32_e32 v10, vcc, v10, v11
	v_addc_co_u32_e32 v10, vcc, v12, v13, vcc
	v_addc_co_u32_e32 v11, vcc, 0, v15, vcc
	v_add_co_u32_e32 v9, vcc, v10, v9
	v_addc_co_u32_e32 v10, vcc, 0, v11, vcc
	v_add_co_u32_e32 v4, vcc, v4, v9
	v_addc_co_u32_e32 v8, vcc, v8, v10, vcc
	v_mul_lo_u32 v9, s0, v8
	v_mul_hi_u32 v10, s0, v4
	v_mul_lo_u32 v11, s1, v4
	v_mul_lo_u32 v12, s0, v4
	v_add_u32_e32 v9, v10, v9
	v_add_u32_e32 v9, v9, v11
	v_mul_lo_u32 v13, v4, v9
	v_mul_hi_u32 v14, v4, v12
	v_mul_hi_u32 v15, v4, v9
	;; [unrolled: 1-line block ×3, first 2 shown]
	v_mul_lo_u32 v12, v8, v12
	v_mul_hi_u32 v10, v8, v9
	v_add_co_u32_e32 v13, vcc, v14, v13
	v_addc_co_u32_e32 v14, vcc, 0, v15, vcc
	v_mul_lo_u32 v9, v8, v9
	v_add_co_u32_e32 v12, vcc, v13, v12
	v_addc_co_u32_e32 v11, vcc, v14, v11, vcc
	v_addc_co_u32_e32 v10, vcc, 0, v10, vcc
	v_add_co_u32_e32 v9, vcc, v11, v9
	v_addc_co_u32_e32 v10, vcc, 0, v10, vcc
	v_add_co_u32_e32 v4, vcc, v4, v9
	v_addc_co_u32_e32 v10, vcc, v8, v10, vcc
	v_mad_u64_u32 v[8:9], s[0:1], v5, v10, 0
	v_mul_hi_u32 v11, v5, v4
	v_add_co_u32_e32 v12, vcc, v11, v8
	v_addc_co_u32_e32 v13, vcc, 0, v9, vcc
	v_mad_u64_u32 v[8:9], s[0:1], v6, v4, 0
	v_mad_u64_u32 v[10:11], s[0:1], v6, v10, 0
	v_add_co_u32_e32 v4, vcc, v12, v8
	v_addc_co_u32_e32 v4, vcc, v13, v9, vcc
	v_addc_co_u32_e32 v8, vcc, 0, v11, vcc
	v_add_co_u32_e32 v4, vcc, v4, v10
	v_addc_co_u32_e32 v10, vcc, 0, v8, vcc
	v_mul_lo_u32 v11, s25, v4
	v_mul_lo_u32 v12, s24, v10
	v_mad_u64_u32 v[8:9], s[0:1], s24, v4, 0
	v_add3_u32 v9, v9, v12, v11
	v_sub_u32_e32 v11, v6, v9
	v_mov_b32_e32 v12, s25
	v_sub_co_u32_e32 v8, vcc, v5, v8
	v_subb_co_u32_e64 v11, s[0:1], v11, v12, vcc
	v_subrev_co_u32_e64 v12, s[0:1], s24, v8
	v_subbrev_co_u32_e64 v11, s[0:1], 0, v11, s[0:1]
	v_cmp_le_u32_e64 s[0:1], s25, v11
	v_cndmask_b32_e64 v13, 0, -1, s[0:1]
	v_cmp_le_u32_e64 s[0:1], s24, v12
	v_cndmask_b32_e64 v12, 0, -1, s[0:1]
	v_cmp_eq_u32_e64 s[0:1], s25, v11
	v_cndmask_b32_e64 v11, v13, v12, s[0:1]
	v_add_co_u32_e64 v12, s[0:1], 2, v4
	v_addc_co_u32_e64 v13, s[0:1], 0, v10, s[0:1]
	v_add_co_u32_e64 v14, s[0:1], 1, v4
	v_addc_co_u32_e64 v15, s[0:1], 0, v10, s[0:1]
	v_subb_co_u32_e32 v9, vcc, v6, v9, vcc
	v_cmp_ne_u32_e64 s[0:1], 0, v11
	v_cmp_le_u32_e32 vcc, s25, v9
	v_cndmask_b32_e64 v11, v15, v13, s[0:1]
	v_cndmask_b32_e64 v13, 0, -1, vcc
	v_cmp_le_u32_e32 vcc, s24, v8
	v_cndmask_b32_e64 v8, 0, -1, vcc
	v_cmp_eq_u32_e32 vcc, s25, v9
	v_cndmask_b32_e32 v8, v13, v8, vcc
	v_cmp_ne_u32_e32 vcc, 0, v8
	v_cndmask_b32_e64 v8, v14, v12, s[0:1]
	v_cndmask_b32_e32 v85, v10, v11, vcc
	v_cndmask_b32_e32 v84, v4, v8, vcc
.LBB0_4:                                ;   in Loop: Header=BB0_2 Depth=1
	s_andn2_saveexec_b64 s[0:1], s[26:27]
	s_cbranch_execz .LBB0_6
; %bb.5:                                ;   in Loop: Header=BB0_2 Depth=1
	v_cvt_f32_u32_e32 v4, s24
	s_sub_i32 s26, 0, s24
	v_mov_b32_e32 v85, v3
	v_rcp_iflag_f32_e32 v4, v4
	v_mul_f32_e32 v4, 0x4f7ffffe, v4
	v_cvt_u32_f32_e32 v4, v4
	v_mul_lo_u32 v8, s26, v4
	v_mul_hi_u32 v8, v4, v8
	v_add_u32_e32 v4, v4, v8
	v_mul_hi_u32 v4, v5, v4
	v_mul_lo_u32 v8, v4, s24
	v_add_u32_e32 v9, 1, v4
	v_sub_u32_e32 v8, v5, v8
	v_subrev_u32_e32 v10, s24, v8
	v_cmp_le_u32_e32 vcc, s24, v8
	v_cndmask_b32_e32 v8, v8, v10, vcc
	v_cndmask_b32_e32 v4, v4, v9, vcc
	v_add_u32_e32 v9, 1, v4
	v_cmp_le_u32_e32 vcc, s24, v8
	v_cndmask_b32_e32 v84, v4, v9, vcc
.LBB0_6:                                ;   in Loop: Header=BB0_2 Depth=1
	s_or_b64 exec, exec, s[0:1]
	v_mul_lo_u32 v4, v85, s24
	v_mul_lo_u32 v10, v84, s25
	v_mad_u64_u32 v[8:9], s[0:1], v84, s24, 0
	s_load_dwordx2 s[0:1], s[6:7], 0x0
	s_load_dwordx2 s[24:25], s[2:3], 0x0
	v_add3_u32 v4, v9, v10, v4
	v_sub_co_u32_e32 v5, vcc, v5, v8
	v_subb_co_u32_e32 v4, vcc, v6, v4, vcc
	s_waitcnt lgkmcnt(0)
	v_mul_lo_u32 v6, s0, v4
	v_mul_lo_u32 v8, s1, v5
	v_mad_u64_u32 v[1:2], s[0:1], s0, v5, v[1:2]
	v_mul_lo_u32 v4, s24, v4
	v_mul_lo_u32 v9, s25, v5
	v_mad_u64_u32 v[80:81], s[0:1], s24, v5, v[80:81]
	s_add_u32 s22, s22, 1
	s_addc_u32 s23, s23, 0
	s_add_u32 s2, s2, 8
	v_add3_u32 v81, v9, v81, v4
	s_addc_u32 s3, s3, 0
	v_mov_b32_e32 v4, s14
	s_add_u32 s6, s6, 8
	v_mov_b32_e32 v5, s15
	s_addc_u32 s7, s7, 0
	v_cmp_ge_u64_e32 vcc, s[22:23], v[4:5]
	s_add_u32 s20, s20, 8
	v_add3_u32 v2, v8, v2, v6
	s_addc_u32 s21, s21, 0
	s_cbranch_vccnz .LBB0_9
; %bb.7:                                ;   in Loop: Header=BB0_2 Depth=1
	v_mov_b32_e32 v5, v84
	v_mov_b32_e32 v6, v85
	s_branch .LBB0_2
.LBB0_8:
	v_mov_b32_e32 v81, v2
	v_mov_b32_e32 v85, v6
	;; [unrolled: 1-line block ×4, first 2 shown]
.LBB0_9:
	s_load_dwordx2 s[2:3], s[4:5], 0x28
	s_lshl_b64 s[6:7], s[14:15], 3
	s_add_u32 s4, s18, s6
	v_and_b32_e32 v3, 1, v7
	s_addc_u32 s5, s19, s7
	s_waitcnt lgkmcnt(0)
	v_cmp_gt_u64_e64 s[0:1], s[2:3], v[84:85]
	v_cmp_le_u64_e64 s[2:3], s[2:3], v[84:85]
	v_cmp_eq_u32_e32 vcc, 1, v3
	v_mov_b32_e32 v3, 0x641
                                        ; implicit-def: $vgpr82
                                        ; implicit-def: $vgpr86
	s_and_saveexec_b64 s[14:15], s[2:3]
	s_xor_b64 s[2:3], exec, s[14:15]
; %bb.10:
	s_mov_b32 s14, 0x28f5c29
	v_mul_hi_u32 v1, v0, s14
	v_mul_u32_u24_e32 v1, 0x64, v1
	v_sub_u32_e32 v82, v0, v1
	v_add_u32_e32 v86, 0x64, v82
                                        ; implicit-def: $vgpr0
                                        ; implicit-def: $vgpr1_vgpr2
; %bb.11:
	s_or_saveexec_b64 s[2:3], s[2:3]
	v_cndmask_b32_e32 v3, 0, v3, vcc
	v_lshlrev_b32_e32 v98, 4, v3
	s_xor_b64 exec, exec, s[2:3]
	s_cbranch_execz .LBB0_13
; %bb.12:
	s_add_u32 s6, s16, s6
	s_addc_u32 s7, s17, s7
	s_load_dwordx2 s[6:7], s[6:7], 0x0
	s_mov_b32 s14, 0x28f5c29
	v_mul_hi_u32 v5, v0, s14
	s_waitcnt lgkmcnt(0)
	v_mul_lo_u32 v6, s7, v84
	v_mul_lo_u32 v7, s6, v85
	v_mad_u64_u32 v[3:4], s[6:7], s6, v84, 0
	v_mul_u32_u24_e32 v5, 0x64, v5
	v_sub_u32_e32 v82, v0, v5
	v_add3_u32 v4, v4, v7, v6
	v_lshlrev_b64 v[3:4], 4, v[3:4]
	v_mov_b32_e32 v0, s9
	v_add_co_u32_e32 v3, vcc, s8, v3
	v_addc_co_u32_e32 v4, vcc, v0, v4, vcc
	v_lshlrev_b64 v[0:1], 4, v[1:2]
	v_lshlrev_b32_e32 v68, 4, v82
	v_add_co_u32_e32 v0, vcc, v3, v0
	v_addc_co_u32_e32 v1, vcc, v4, v1, vcc
	v_add_co_u32_e32 v47, vcc, v0, v68
	v_addc_co_u32_e32 v48, vcc, 0, v1, vcc
	s_movk_i32 s6, 0x1000
	v_add_co_u32_e32 v24, vcc, s6, v47
	v_addc_co_u32_e32 v25, vcc, 0, v48, vcc
	s_movk_i32 s6, 0x2000
	;; [unrolled: 3-line block ×4, first 2 shown]
	v_add_co_u32_e32 v64, vcc, s6, v47
	v_addc_co_u32_e32 v65, vcc, 0, v48, vcc
	v_add_co_u32_e32 v66, vcc, 0x5000, v47
	global_load_dwordx4 v[0:3], v[47:48], off
	global_load_dwordx4 v[4:7], v[47:48], off offset:1600
	global_load_dwordx4 v[8:11], v[47:48], off offset:3200
	;; [unrolled: 1-line block ×5, first 2 shown]
	s_nop 0
	global_load_dwordx4 v[24:27], v[32:33], off offset:1408
	global_load_dwordx4 v[28:31], v[32:33], off offset:3008
	s_nop 0
	global_load_dwordx4 v[32:35], v[49:50], off offset:512
	global_load_dwordx4 v[36:39], v[49:50], off offset:2112
	global_load_dwordx4 v[40:43], v[49:50], off offset:3712
	global_load_dwordx4 v[44:47], v[64:65], off offset:1216
	v_addc_co_u32_e32 v67, vcc, 0, v48, vcc
	global_load_dwordx4 v[48:51], v[64:65], off offset:2816
	global_load_dwordx4 v[52:55], v[66:67], off offset:320
	;; [unrolled: 1-line block ×4, first 2 shown]
	v_add_u32_e32 v86, 0x64, v82
	v_add3_u32 v64, 0, v98, v68
	s_waitcnt vmcnt(15)
	ds_write_b128 v64, v[0:3]
	s_waitcnt vmcnt(14)
	ds_write_b128 v64, v[4:7] offset:1600
	s_waitcnt vmcnt(13)
	ds_write_b128 v64, v[8:11] offset:3200
	;; [unrolled: 2-line block ×15, first 2 shown]
.LBB0_13:
	s_or_b64 exec, exec, s[2:3]
	v_lshlrev_b32_e32 v83, 4, v82
	v_add_u32_e32 v95, 0, v98
	v_add3_u32 v97, 0, v83, v98
	s_load_dwordx2 s[2:3], s[4:5], 0x0
	s_waitcnt lgkmcnt(0)
	s_barrier
	v_add_u32_e32 v96, v95, v83
	ds_read_b128 v[4:7], v97 offset:5120
	ds_read_b128 v[0:3], v96
	ds_read_b128 v[24:27], v97 offset:1600
	ds_read_b128 v[32:35], v97 offset:6720
	;; [unrolled: 1-line block ×6, first 2 shown]
	s_waitcnt lgkmcnt(6)
	v_add_f64 v[16:17], v[0:1], v[4:5]
	v_add_f64 v[18:19], v[2:3], v[6:7]
	ds_read_b128 v[44:47], v97 offset:20480
	s_waitcnt lgkmcnt(3)
	v_add_f64 v[64:65], v[8:9], v[12:13]
	v_add_f64 v[66:67], v[10:11], -v[14:15]
	v_add_f64 v[68:69], v[4:5], -v[8:9]
	;; [unrolled: 1-line block ×3, first 2 shown]
	v_add_f64 v[72:73], v[10:11], v[14:15]
	v_add_f64 v[36:37], v[16:17], v[8:9]
	;; [unrolled: 1-line block ×3, first 2 shown]
	ds_read_b128 v[16:19], v97 offset:16960
	v_add_f64 v[74:75], v[8:9], -v[12:13]
	v_add_f64 v[76:77], v[6:7], -v[10:11]
	;; [unrolled: 1-line block ×3, first 2 shown]
	s_waitcnt lgkmcnt(1)
	v_add_f64 v[87:88], v[6:7], -v[46:47]
	v_add_f64 v[89:90], v[4:5], v[44:45]
	v_add_f64 v[91:92], v[4:5], -v[44:45]
	v_add_f64 v[93:94], v[6:7], v[46:47]
	ds_read_b128 v[4:7], v97 offset:7680
	ds_read_b128 v[8:11], v97 offset:2560
	v_add_f64 v[48:49], v[36:37], v[12:13]
	v_add_f64 v[50:51], v[38:39], v[14:15]
	v_add_f64 v[99:100], v[44:45], -v[12:13]
	v_add_f64 v[103:104], v[12:13], -v[44:45]
	s_waitcnt lgkmcnt(0)
	v_add_f64 v[52:53], v[8:9], v[4:5]
	v_add_f64 v[54:55], v[10:11], v[6:7]
	v_add_f64 v[101:102], v[46:47], -v[14:15]
	ds_read_b128 v[36:39], v97 offset:4160
	ds_read_b128 v[40:43], v97 offset:9280
	v_add_f64 v[105:106], v[14:15], -v[46:47]
	ds_read_b128 v[12:15], v97 offset:12800
	ds_read_b128 v[56:59], v97 offset:17920
	v_add_f64 v[107:108], v[48:49], v[44:45]
	v_add_f64 v[109:110], v[50:51], v[46:47]
	ds_read_b128 v[44:47], v97 offset:14400
	s_waitcnt lgkmcnt(2)
	v_add_f64 v[111:112], v[52:53], v[12:13]
	v_add_f64 v[113:114], v[54:55], v[14:15]
	ds_read_b128 v[52:55], v97 offset:19520
	s_waitcnt lgkmcnt(2)
	v_add_f64 v[115:116], v[12:13], v[56:57]
	ds_read_b128 v[60:63], v97 offset:23040
	ds_read_b128 v[48:51], v97 offset:24640
	v_add_f64 v[119:120], v[4:5], -v[12:13]
	v_add_f64 v[121:122], v[12:13], -v[4:5]
	v_add_f64 v[123:124], v[14:15], v[58:59]
	s_waitcnt lgkmcnt(1)
	v_add_f64 v[127:128], v[6:7], -v[62:63]
	v_add_f64 v[129:130], v[4:5], v[60:61]
	v_add_f64 v[111:112], v[111:112], v[56:57]
	v_add_f64 v[131:132], v[4:5], -v[60:61]
	v_add_f64 v[4:5], v[113:114], v[58:59]
	v_fma_f64 v[115:116], v[115:116], -0.5, v[8:9]
	s_mov_b32 s4, 0x134454ff
	s_mov_b32 s5, 0x3fee6f0e
	v_add_f64 v[117:118], v[14:15], -v[58:59]
	v_add_f64 v[12:13], v[12:13], -v[56:57]
	;; [unrolled: 1-line block ×4, first 2 shown]
	v_add_f64 v[6:7], v[6:7], v[62:63]
	v_add_f64 v[113:114], v[60:61], -v[56:57]
	v_add_f64 v[56:57], v[56:57], -v[60:61]
	;; [unrolled: 1-line block ×4, first 2 shown]
	v_add_f64 v[60:61], v[111:112], v[60:61]
	v_fma_f64 v[111:112], v[123:124], -0.5, v[10:11]
	v_add_f64 v[4:5], v[4:5], v[62:63]
	v_fma_f64 v[62:63], v[64:65], -0.5, v[0:1]
	v_fma_f64 v[64:65], v[127:128], s[4:5], v[115:116]
	s_mov_b32 s8, 0x4755a5e
	s_mov_b32 s7, 0xbfee6f0e
	;; [unrolled: 1-line block ×4, first 2 shown]
	v_fma_f64 v[123:124], v[131:132], s[6:7], v[111:112]
	v_add_f64 v[113:114], v[119:120], v[113:114]
	v_fma_f64 v[8:9], v[129:130], -0.5, v[8:9]
	v_fma_f64 v[64:65], v[117:118], s[8:9], v[64:65]
	s_mov_b32 s16, 0x372fe950
	s_mov_b32 s15, 0xbfe2cf23
	;; [unrolled: 1-line block ×4, first 2 shown]
	v_add_f64 v[119:120], v[125:126], v[133:134]
	v_fma_f64 v[123:124], v[12:13], s[14:15], v[123:124]
	v_fma_f64 v[89:90], v[89:90], -0.5, v[0:1]
	v_fma_f64 v[72:73], v[72:73], -0.5, v[2:3]
	v_fma_f64 v[0:1], v[113:114], s[16:17], v[64:65]
	v_fma_f64 v[10:11], v[6:7], -0.5, v[10:11]
	v_fma_f64 v[133:134], v[117:118], s[6:7], v[8:9]
	s_mov_b32 s18, 0x9b97f4a8
	s_mov_b32 s19, 0x3fe9e377
	v_fma_f64 v[6:7], v[119:120], s[16:17], v[123:124]
	v_fma_f64 v[64:65], v[87:88], s[4:5], v[62:63]
	;; [unrolled: 1-line block ×3, first 2 shown]
	v_mul_f64 v[125:126], v[0:1], s[18:19]
	v_fma_f64 v[129:130], v[12:13], s[4:5], v[10:11]
	v_mul_f64 v[0:1], v[0:1], s[14:15]
	v_add_f64 v[76:77], v[76:77], v[101:102]
	v_add_f64 v[56:57], v[121:122], v[56:57]
	v_fma_f64 v[101:102], v[127:128], s[8:9], v[133:134]
	v_add_f64 v[68:69], v[68:69], v[99:100]
	v_fma_f64 v[64:65], v[66:67], s[8:9], v[64:65]
	v_fma_f64 v[99:100], v[74:75], s[14:15], v[123:124]
	v_add_f64 v[14:15], v[14:15], v[58:59]
	v_fma_f64 v[58:59], v[131:132], s[14:15], v[129:130]
	v_fma_f64 v[121:122], v[6:7], s[8:9], v[125:126]
	;; [unrolled: 1-line block ×5, first 2 shown]
	v_fma_f64 v[93:94], v[93:94], -0.5, v[2:3]
	v_fma_f64 v[64:65], v[68:69], s[16:17], v[64:65]
	v_add_f64 v[2:3], v[109:110], v[4:5]
	v_fma_f64 v[58:59], v[14:15], s[16:17], v[58:59]
	v_add_f64 v[101:102], v[109:110], -v[4:5]
	v_add_f64 v[70:71], v[70:71], v[103:104]
	v_mul_f64 v[109:110], v[129:130], s[6:7]
	v_fma_f64 v[103:104], v[87:88], s[8:9], v[6:7]
	v_fma_f64 v[10:11], v[12:13], s[6:7], v[10:11]
	v_fma_f64 v[125:126], v[76:77], s[16:17], v[99:100]
	v_add_f64 v[0:1], v[107:108], v[60:61]
	v_add_f64 v[99:100], v[107:108], -v[60:61]
	v_mul_f64 v[107:108], v[58:59], s[4:5]
	v_add_f64 v[4:5], v[64:65], v[121:122]
	v_fma_f64 v[8:9], v[117:118], s[4:5], v[8:9]
	v_fma_f64 v[58:59], v[58:59], s[16:17], v[109:110]
	;; [unrolled: 1-line block ×4, first 2 shown]
	v_add_f64 v[103:104], v[64:65], -v[121:122]
	v_fma_f64 v[121:122], v[131:132], s[8:9], v[10:11]
	v_fma_f64 v[60:61], v[74:75], s[4:5], v[93:94]
	;; [unrolled: 1-line block ×5, first 2 shown]
	v_add_f64 v[78:79], v[78:79], v[105:106]
	v_fma_f64 v[62:63], v[87:88], s[6:7], v[62:63]
	v_fma_f64 v[111:112], v[131:132], s[4:5], v[111:112]
	v_fma_f64 v[14:15], v[14:15], s[16:17], v[121:122]
	v_fma_f64 v[60:61], v[91:92], s[14:15], v[60:61]
	v_fma_f64 v[87:88], v[87:88], s[14:15], v[89:90]
	v_fma_f64 v[56:57], v[56:57], s[16:17], v[64:65]
	v_fma_f64 v[89:90], v[91:92], s[8:9], v[93:94]
	v_fma_f64 v[109:110], v[117:118], s[14:15], v[109:110]
	v_fma_f64 v[64:65], v[91:92], s[4:5], v[72:73]
	v_fma_f64 v[12:13], v[12:13], s[8:9], v[111:112]
	v_mul_f64 v[93:94], v[14:15], s[16:17]
	v_fma_f64 v[60:61], v[78:79], s[16:17], v[60:61]
	v_add_f64 v[6:7], v[125:126], v[123:124]
	v_mul_f64 v[91:92], v[56:57], s[16:17]
	v_fma_f64 v[78:79], v[78:79], s[16:17], v[89:90]
	v_fma_f64 v[72:73], v[113:114], s[16:17], v[109:110]
	v_fma_f64 v[107:108], v[129:130], s[16:17], v[107:108]
	v_fma_f64 v[70:71], v[70:71], s[16:17], v[87:88]
	v_fma_f64 v[56:57], v[56:57], s[6:7], -v[93:94]
	v_fma_f64 v[12:13], v[119:120], s[16:17], v[12:13]
	v_fma_f64 v[62:63], v[66:67], s[14:15], v[62:63]
	v_fma_f64 v[87:88], v[14:15], s[4:5], -v[91:92]
	v_add_f64 v[10:11], v[60:61], v[58:59]
	v_mul_f64 v[66:67], v[72:73], s[18:19]
	v_add_f64 v[109:110], v[60:61], -v[58:59]
	v_mul_u32_u24_e32 v58, 10, v82
	v_add_f64 v[14:15], v[78:79], v[56:57]
	v_add_f64 v[113:114], v[78:79], -v[56:57]
	v_add_f64 v[56:57], v[28:29], v[16:17]
	v_lshl_add_u32 v127, v58, 4, v95
	v_add_f64 v[8:9], v[115:116], v[107:108]
	s_waitcnt lgkmcnt(0)
	s_barrier
	v_add_f64 v[58:59], v[34:35], -v[22:23]
	ds_write_b128 v127, v[0:3]
	v_fma_f64 v[56:57], v[56:57], -0.5, v[24:25]
	v_add_f64 v[0:1], v[32:33], v[20:21]
	ds_write_b128 v127, v[4:7] offset:16
	v_add_f64 v[2:3], v[32:33], -v[28:29]
	v_add_f64 v[4:5], v[20:21], -v[16:17]
	v_fma_f64 v[64:65], v[74:75], s[8:9], v[64:65]
	v_mul_f64 v[74:75], v[12:13], s[18:19]
	v_fma_f64 v[66:67], v[12:13], s[8:9], -v[66:67]
	v_add_f64 v[12:13], v[70:71], v[87:88]
	v_fma_f64 v[62:63], v[68:69], s[16:17], v[62:63]
	ds_write_b128 v127, v[8:11] offset:32
	ds_write_b128 v127, v[12:15] offset:48
	v_fma_f64 v[6:7], v[58:59], s[4:5], v[56:57]
	v_add_f64 v[8:9], v[30:31], -v[18:19]
	v_fma_f64 v[0:1], v[0:1], -0.5, v[24:25]
	v_fma_f64 v[10:11], v[58:59], s[6:7], v[56:57]
	v_add_f64 v[12:13], v[30:31], v[18:19]
	v_add_f64 v[2:3], v[2:3], v[4:5]
	v_add_f64 v[4:5], v[28:29], -v[32:33]
	v_add_f64 v[14:15], v[16:17], -v[20:21]
	v_add_f64 v[56:57], v[34:35], v[22:23]
	v_fma_f64 v[64:65], v[76:77], s[16:17], v[64:65]
	v_fma_f64 v[68:69], v[72:73], s[14:15], -v[74:75]
	v_add_f64 v[107:108], v[115:116], -v[107:108]
	v_add_f64 v[115:116], v[62:63], v[66:67]
	v_add_f64 v[119:120], v[62:63], -v[66:67]
	v_fma_f64 v[6:7], v[8:9], s[8:9], v[6:7]
	v_fma_f64 v[60:61], v[8:9], s[6:7], v[0:1]
	;; [unrolled: 1-line block ×3, first 2 shown]
	v_fma_f64 v[12:13], v[12:13], -0.5, v[26:27]
	v_add_f64 v[62:63], v[32:33], -v[20:21]
	v_fma_f64 v[0:1], v[8:9], s[4:5], v[0:1]
	v_add_f64 v[4:5], v[4:5], v[14:15]
	v_fma_f64 v[8:9], v[56:57], -0.5, v[26:27]
	v_add_f64 v[14:15], v[28:29], -v[16:17]
	v_add_f64 v[111:112], v[70:71], -v[87:88]
	v_add_f64 v[117:118], v[64:65], v[68:69]
	v_add_f64 v[121:122], v[64:65], -v[68:69]
	v_fma_f64 v[64:65], v[58:59], s[8:9], v[60:61]
	v_add_f64 v[56:57], v[34:35], -v[30:31]
	v_add_f64 v[60:61], v[22:23], -v[18:19]
	v_fma_f64 v[66:67], v[62:63], s[6:7], v[12:13]
	v_fma_f64 v[12:13], v[62:63], s[4:5], v[12:13]
	v_add_f64 v[68:69], v[30:31], -v[34:35]
	v_add_f64 v[70:71], v[18:19], -v[22:23]
	v_fma_f64 v[72:73], v[14:15], s[4:5], v[8:9]
	v_fma_f64 v[8:9], v[14:15], s[6:7], v[8:9]
	;; [unrolled: 1-line block ×3, first 2 shown]
	v_add_f64 v[58:59], v[44:45], v[52:53]
	v_add_f64 v[74:75], v[56:57], v[60:61]
	v_fma_f64 v[66:67], v[14:15], s[14:15], v[66:67]
	v_fma_f64 v[12:13], v[14:15], s[8:9], v[12:13]
	v_add_f64 v[14:15], v[68:69], v[70:71]
	v_fma_f64 v[56:57], v[2:3], s[16:17], v[6:7]
	v_fma_f64 v[8:9], v[62:63], s[8:9], v[8:9]
	v_fma_f64 v[60:61], v[2:3], s[16:17], v[10:11]
	v_fma_f64 v[2:3], v[58:59], -0.5, v[36:37]
	v_add_f64 v[6:7], v[42:43], -v[50:51]
	v_fma_f64 v[68:69], v[62:63], s[14:15], v[72:73]
	v_fma_f64 v[58:59], v[4:5], s[16:17], v[64:65]
	;; [unrolled: 1-line block ×3, first 2 shown]
	v_add_f64 v[0:1], v[40:41], v[48:49]
	v_fma_f64 v[64:65], v[74:75], s[16:17], v[66:67]
	v_fma_f64 v[66:67], v[74:75], s[16:17], v[12:13]
	v_add_f64 v[4:5], v[40:41], -v[44:45]
	v_add_f64 v[10:11], v[48:49], -v[52:53]
	v_fma_f64 v[12:13], v[6:7], s[4:5], v[2:3]
	v_add_f64 v[72:73], v[46:47], -v[54:55]
	v_add_f64 v[74:75], v[42:43], v[50:51]
	v_fma_f64 v[70:71], v[14:15], s[16:17], v[8:9]
	v_add_f64 v[8:9], v[46:47], v[54:55]
	v_fma_f64 v[2:3], v[6:7], s[6:7], v[2:3]
	v_fma_f64 v[0:1], v[0:1], -0.5, v[36:37]
	v_fma_f64 v[68:69], v[14:15], s[16:17], v[68:69]
	v_add_f64 v[4:5], v[4:5], v[10:11]
	v_fma_f64 v[10:11], v[72:73], s[8:9], v[12:13]
	v_add_f64 v[12:13], v[44:45], -v[40:41]
	v_add_f64 v[14:15], v[52:53], -v[48:49]
	v_fma_f64 v[74:75], v[74:75], -0.5, v[38:39]
	v_add_f64 v[76:77], v[44:45], -v[52:53]
	v_fma_f64 v[8:9], v[8:9], -0.5, v[38:39]
	v_add_f64 v[89:90], v[40:41], -v[48:49]
	v_add_f64 v[105:106], v[125:126], -v[123:124]
	v_fma_f64 v[2:3], v[72:73], s[14:15], v[2:3]
	v_fma_f64 v[78:79], v[72:73], s[6:7], v[0:1]
	v_add_f64 v[87:88], v[46:47], -v[42:43]
	v_add_f64 v[91:92], v[54:55], -v[50:51]
	v_fma_f64 v[0:1], v[72:73], s[4:5], v[0:1]
	v_add_f64 v[12:13], v[12:13], v[14:15]
	v_fma_f64 v[14:15], v[76:77], s[4:5], v[74:75]
	v_add_f64 v[72:73], v[42:43], -v[46:47]
	v_add_f64 v[93:94], v[50:51], -v[54:55]
	v_fma_f64 v[74:75], v[76:77], s[6:7], v[74:75]
	v_fma_f64 v[123:124], v[89:90], s[6:7], v[8:9]
	;; [unrolled: 1-line block ×3, first 2 shown]
	v_add_f64 v[87:88], v[87:88], v[91:92]
	v_fma_f64 v[78:79], v[6:7], s[8:9], v[78:79]
	v_fma_f64 v[14:15], v[89:90], s[14:15], v[14:15]
	;; [unrolled: 1-line block ×3, first 2 shown]
	v_add_f64 v[6:7], v[72:73], v[93:94]
	v_fma_f64 v[72:73], v[89:90], s[8:9], v[74:75]
	v_fma_f64 v[74:75], v[76:77], s[14:15], v[123:124]
	;; [unrolled: 1-line block ×11, first 2 shown]
	v_mul_f64 v[8:9], v[10:11], s[18:19]
	v_mul_f64 v[10:11], v[10:11], s[14:15]
	;; [unrolled: 1-line block ×8, first 2 shown]
	v_fma_f64 v[72:73], v[74:75], s[8:9], v[8:9]
	v_fma_f64 v[87:88], v[74:75], s[18:19], v[10:11]
	;; [unrolled: 1-line block ×4, first 2 shown]
	v_fma_f64 v[76:77], v[12:13], s[4:5], -v[91:92]
	v_fma_f64 v[91:92], v[0:1], s[6:7], -v[93:94]
	;; [unrolled: 1-line block ×4, first 2 shown]
	v_add_f64 v[0:1], v[56:57], -v[72:73]
	v_add_f64 v[2:3], v[64:65], -v[87:88]
	v_add_f64 v[4:5], v[58:59], -v[74:75]
	v_add_f64 v[6:7], v[68:69], -v[89:90]
	v_add_f64 v[8:9], v[62:63], -v[76:77]
	v_add_f64 v[10:11], v[70:71], -v[91:92]
	v_add_f64 v[12:13], v[60:61], -v[78:79]
	v_add_f64 v[14:15], v[66:67], -v[93:94]
	v_cmp_gt_u32_e32 vcc, 60, v82
	ds_write_b128 v127, v[115:118] offset:64
	ds_write_b128 v127, v[99:102] offset:80
	;; [unrolled: 1-line block ×6, first 2 shown]
	s_and_saveexec_b64 s[4:5], vcc
	s_cbranch_execz .LBB0_15
; %bb.14:
	v_add_f64 v[26:27], v[26:27], v[34:35]
	v_add_f64 v[34:35], v[38:39], v[42:43]
	;; [unrolled: 1-line block ×24, first 2 shown]
	v_mul_i32_i24_e32 v22, 10, v86
	v_lshlrev_b32_e32 v22, 4, v22
	v_add3_u32 v42, 0, v22, v98
	ds_write_b128 v42, v[0:3] offset:96
	v_add_f64 v[22:23], v[36:37], -v[38:39]
	v_add_f64 v[38:39], v[36:37], v[38:39]
	v_add_f64 v[36:37], v[20:21], v[40:41]
	v_add_f64 v[20:21], v[20:21], -v[40:41]
	ds_write_b128 v42, v[4:7] offset:112
	ds_write_b128 v42, v[8:11] offset:128
	;; [unrolled: 1-line block ×6, first 2 shown]
	ds_write_b128 v42, v[36:39]
	ds_write_b128 v42, v[20:23] offset:80
	ds_write_b128 v42, v[12:15] offset:144
.LBB0_15:
	s_or_b64 exec, exec, s[4:5]
	s_movk_i32 s4, 0xcd
	v_mul_lo_u16_sdwa v16, v82, s4 dst_sel:DWORD dst_unused:UNUSED_PAD src0_sel:BYTE_0 src1_sel:DWORD
	v_lshrrev_b16_e32 v40, 11, v16
	v_mul_lo_u16_e32 v16, 10, v40
	v_sub_u16_e32 v41, v82, v16
	v_mov_b32_e32 v16, 15
	v_mul_u32_u24_sdwa v16, v41, v16 dst_sel:DWORD dst_unused:UNUSED_PAD src0_sel:BYTE_0 src1_sel:DWORD
	v_lshlrev_b32_e32 v78, 4, v16
	s_waitcnt lgkmcnt(0)
	s_barrier
	global_load_dwordx4 v[16:19], v78, s[12:13]
	global_load_dwordx4 v[20:23], v78, s[12:13] offset:16
	global_load_dwordx4 v[24:27], v78, s[12:13] offset:32
	;; [unrolled: 1-line block ×14, first 2 shown]
	v_lshlrev_b32_e32 v78, 4, v86
	ds_read_b128 v[88:91], v96
	ds_read_b128 v[99:102], v97 offset:3200
	ds_read_b128 v[103:106], v97 offset:4800
	;; [unrolled: 1-line block ×9, first 2 shown]
	v_add3_u32 v87, 0, v78, v98
	ds_read_b128 v[135:138], v87
	ds_read_b128 v[139:142], v97 offset:17600
	ds_read_b128 v[143:146], v97 offset:19200
	;; [unrolled: 1-line block ×5, first 2 shown]
	s_mov_b32 s4, 0x667f3bcd
	s_mov_b32 s5, 0xbfe6a09e
	;; [unrolled: 1-line block ×12, first 2 shown]
	v_mul_u32_u24_e32 v40, 0xa0, v40
	v_or_b32_sdwa v40, v40, v41 dst_sel:DWORD dst_unused:UNUSED_PAD src0_sel:DWORD src1_sel:BYTE_0
	v_lshlrev_b32_e32 v40, 4, v40
	v_add3_u32 v40, 0, v40, v98
	s_waitcnt vmcnt(0) lgkmcnt(0)
	s_barrier
	v_mul_f64 v[78:79], v[137:138], v[18:19]
	v_mul_f64 v[18:19], v[135:136], v[18:19]
	;; [unrolled: 1-line block ×28, first 2 shown]
	v_fma_f64 v[78:79], v[135:136], v[16:17], -v[78:79]
	v_fma_f64 v[16:17], v[137:138], v[16:17], v[18:19]
	v_fma_f64 v[18:19], v[99:100], v[20:21], -v[92:93]
	v_fma_f64 v[20:21], v[101:102], v[20:21], v[22:23]
	;; [unrolled: 2-line block ×14, first 2 shown]
	v_mul_f64 v[183:184], v[157:158], v[76:77]
	v_mul_f64 v[76:77], v[155:156], v[76:77]
	v_add_f64 v[44:45], v[88:89], -v[44:45]
	v_add_f64 v[46:47], v[90:91], -v[46:47]
	;; [unrolled: 1-line block ×8, first 2 shown]
	v_fma_f64 v[72:73], v[155:156], v[74:75], -v[183:184]
	v_fma_f64 v[74:75], v[157:158], v[74:75], v[76:77]
	v_fma_f64 v[76:77], v[88:89], 2.0, -v[44:45]
	v_fma_f64 v[88:89], v[90:91], 2.0, -v[46:47]
	;; [unrolled: 1-line block ×8, first 2 shown]
	v_add_f64 v[48:49], v[78:79], -v[48:49]
	v_add_f64 v[64:65], v[30:31], -v[64:65]
	;; [unrolled: 1-line block ×12, first 2 shown]
	v_add_f64 v[60:61], v[46:47], v[60:61]
	v_add_f64 v[68:69], v[54:55], v[68:69]
	v_add_f64 v[50:51], v[16:17], -v[50:51]
	v_add_f64 v[58:59], v[24:25], -v[58:59]
	v_fma_f64 v[78:79], v[78:79], 2.0, -v[48:49]
	v_fma_f64 v[30:31], v[30:31], 2.0, -v[64:65]
	;; [unrolled: 1-line block ×12, first 2 shown]
	v_add_f64 v[66:67], v[48:49], -v[66:67]
	v_add_f64 v[74:75], v[56:57], -v[74:75]
	v_fma_f64 v[46:47], v[46:47], 2.0, -v[60:61]
	v_fma_f64 v[54:55], v[54:55], 2.0, -v[68:69]
	;; [unrolled: 1-line block ×4, first 2 shown]
	v_add_f64 v[64:65], v[50:51], v[64:65]
	v_add_f64 v[72:73], v[58:59], v[72:73]
	v_add_f64 v[30:31], v[78:79], -v[30:31]
	v_add_f64 v[38:39], v[22:23], -v[38:39]
	v_fma_f64 v[48:49], v[48:49], 2.0, -v[66:67]
	v_fma_f64 v[56:57], v[56:57], 2.0, -v[74:75]
	v_fma_f64 v[90:91], v[52:53], s[4:5], v[44:45]
	v_add_f64 v[99:100], v[76:77], -v[18:19]
	v_add_f64 v[101:102], v[88:89], -v[20:21]
	v_fma_f64 v[18:19], v[70:71], s[6:7], v[62:63]
	v_fma_f64 v[92:93], v[54:55], s[4:5], v[46:47]
	v_add_f64 v[32:33], v[16:17], -v[32:33]
	v_add_f64 v[42:43], v[24:25], -v[42:43]
	v_fma_f64 v[50:51], v[50:51], 2.0, -v[64:65]
	v_fma_f64 v[58:59], v[58:59], 2.0, -v[72:73]
	v_fma_f64 v[20:21], v[68:69], s[6:7], v[60:61]
	v_fma_f64 v[78:79], v[78:79], 2.0, -v[30:31]
	v_fma_f64 v[22:23], v[22:23], 2.0, -v[38:39]
	v_fma_f64 v[90:91], v[54:55], s[4:5], v[90:91]
	v_add_f64 v[103:104], v[26:27], -v[36:37]
	v_fma_f64 v[36:37], v[88:89], 2.0, -v[101:102]
	v_fma_f64 v[88:89], v[68:69], s[4:5], v[18:19]
	v_fma_f64 v[18:19], v[56:57], s[4:5], v[48:49]
	;; [unrolled: 1-line block ×3, first 2 shown]
	v_fma_f64 v[16:17], v[16:17], 2.0, -v[32:33]
	v_fma_f64 v[24:25], v[24:25], 2.0, -v[42:43]
	v_fma_f64 v[107:108], v[70:71], s[6:7], v[20:21]
	v_fma_f64 v[20:21], v[58:59], s[4:5], v[50:51]
	v_add_f64 v[105:106], v[28:29], v[34:35]
	v_fma_f64 v[34:35], v[76:77], 2.0, -v[99:100]
	v_fma_f64 v[54:55], v[44:45], 2.0, -v[90:91]
	v_fma_f64 v[44:45], v[74:75], s[6:7], v[66:67]
	v_add_f64 v[76:77], v[78:79], -v[22:23]
	v_fma_f64 v[109:110], v[58:59], s[4:5], v[18:19]
	v_add_f64 v[38:39], v[32:33], v[38:39]
	v_fma_f64 v[68:69], v[46:47], 2.0, -v[92:93]
	v_fma_f64 v[46:47], v[72:73], s[6:7], v[64:65]
	v_add_f64 v[24:25], v[16:17], -v[24:25]
	v_fma_f64 v[111:112], v[56:57], s[6:7], v[20:21]
	v_add_f64 v[113:114], v[30:31], -v[42:43]
	v_fma_f64 v[28:29], v[28:29], 2.0, -v[105:106]
	v_fma_f64 v[72:73], v[72:73], s[4:5], v[44:45]
	v_fma_f64 v[18:19], v[78:79], 2.0, -v[76:77]
	v_fma_f64 v[20:21], v[48:49], 2.0, -v[109:110]
	;; [unrolled: 1-line block ×3, first 2 shown]
	v_fma_f64 v[74:75], v[74:75], s[6:7], v[46:47]
	v_fma_f64 v[26:27], v[26:27], 2.0, -v[103:104]
	v_fma_f64 v[16:17], v[16:17], 2.0, -v[24:25]
	;; [unrolled: 1-line block ×6, first 2 shown]
	v_add_f64 v[42:43], v[34:35], -v[18:19]
	v_fma_f64 v[18:19], v[20:21], s[8:9], v[54:55]
	v_fma_f64 v[58:59], v[32:33], s[4:5], v[28:29]
	v_fma_f64 v[70:71], v[60:61], 2.0, -v[107:108]
	v_fma_f64 v[52:53], v[64:65], 2.0, -v[74:75]
	v_add_f64 v[44:45], v[36:37], -v[16:17]
	v_fma_f64 v[16:17], v[22:23], s[8:9], v[68:69]
	v_fma_f64 v[56:57], v[30:31], s[4:5], v[26:27]
	;; [unrolled: 1-line block ×12, first 2 shown]
	v_fma_f64 v[60:61], v[28:29], 2.0, -v[18:19]
	v_fma_f64 v[28:29], v[109:110], s[16:17], v[90:91]
	v_fma_f64 v[22:23], v[50:51], s[18:19], v[22:23]
	v_fma_f64 v[50:51], v[34:35], 2.0, -v[42:43]
	v_fma_f64 v[34:35], v[38:39], s[6:7], v[105:106]
	v_fma_f64 v[52:53], v[36:37], 2.0, -v[44:45]
	;; [unrolled: 2-line block ×3, first 2 shown]
	v_add_f64 v[24:25], v[99:100], -v[24:25]
	v_add_f64 v[26:27], v[101:102], v[76:77]
	v_fma_f64 v[28:29], v[111:112], s[8:9], v[28:29]
	v_fma_f64 v[30:31], v[109:110], s[18:19], v[30:31]
	;; [unrolled: 1-line block ×6, first 2 shown]
	v_fma_f64 v[54:55], v[54:55], 2.0, -v[46:47]
	v_fma_f64 v[56:57], v[68:69], 2.0, -v[48:49]
	;; [unrolled: 1-line block ×12, first 2 shown]
	ds_write_b128 v40, v[50:53]
	ds_write_b128 v40, v[54:57] offset:160
	ds_write_b128 v40, v[58:61] offset:320
	;; [unrolled: 1-line block ×15, first 2 shown]
	s_waitcnt lgkmcnt(0)
	s_barrier
	ds_read_b128 v[40:43], v96
	ds_read_b128 v[76:79], v97 offset:2560
	ds_read_b128 v[72:75], v97 offset:5120
	;; [unrolled: 1-line block ×9, first 2 shown]
	s_and_saveexec_b64 s[4:5], vcc
	s_cbranch_execz .LBB0_17
; %bb.16:
	ds_read_b128 v[20:23], v97 offset:4160
	ds_read_b128 v[24:27], v97 offset:6720
	ds_read_b128 v[28:31], v97 offset:9280
	ds_read_b128 v[32:35], v97 offset:11840
	ds_read_b128 v[36:39], v97 offset:14400
	ds_read_b128 v[0:3], v97 offset:16960
	ds_read_b128 v[4:7], v97 offset:19520
	ds_read_b128 v[8:11], v97 offset:22080
	ds_read_b128 v[16:19], v87
	ds_read_b128 v[12:15], v97 offset:24640
.LBB0_17:
	s_or_b64 exec, exec, s[4:5]
	v_mul_u32_u24_e32 v87, 9, v82
	v_lshlrev_b32_e32 v126, 4, v87
	global_load_dwordx4 v[87:90], v126, s[12:13] offset:2400
	global_load_dwordx4 v[91:94], v126, s[12:13] offset:2416
	;; [unrolled: 1-line block ×9, first 2 shown]
	s_mov_b32 s4, 0x134454ff
	s_mov_b32 s5, 0x3fee6f0e
	;; [unrolled: 1-line block ×12, first 2 shown]
	s_waitcnt vmcnt(0) lgkmcnt(0)
	s_barrier
	v_mul_f64 v[126:127], v[78:79], v[89:90]
	v_mul_f64 v[128:129], v[74:75], v[93:94]
	;; [unrolled: 1-line block ×14, first 2 shown]
	v_fma_f64 v[72:73], v[72:73], v[91:92], -v[128:129]
	v_fma_f64 v[74:75], v[74:75], v[91:92], v[93:94]
	v_fma_f64 v[64:65], v[64:65], v[102:103], -v[132:133]
	v_fma_f64 v[66:67], v[66:67], v[102:103], v[104:105]
	;; [unrolled: 2-line block ×3, first 2 shown]
	v_fma_f64 v[52:53], v[52:53], v[118:119], -v[140:141]
	v_mul_f64 v[138:139], v[50:51], v[116:117]
	v_mul_f64 v[116:117], v[48:49], v[116:117]
	;; [unrolled: 1-line block ×4, first 2 shown]
	v_fma_f64 v[76:77], v[76:77], v[87:88], -v[126:127]
	v_fma_f64 v[78:79], v[78:79], v[87:88], v[89:90]
	v_fma_f64 v[68:69], v[68:69], v[98:99], -v[130:131]
	v_fma_f64 v[70:71], v[70:71], v[98:99], v[100:101]
	v_fma_f64 v[62:63], v[62:63], v[106:107], v[108:109]
	;; [unrolled: 1-line block ×3, first 2 shown]
	v_add_f64 v[87:88], v[40:41], v[72:73]
	v_add_f64 v[89:90], v[64:65], v[56:57]
	v_add_f64 v[98:99], v[72:73], -v[64:65]
	v_add_f64 v[100:101], v[52:53], -v[56:57]
	v_add_f64 v[102:103], v[72:73], v[52:53]
	v_add_f64 v[108:109], v[42:43], v[74:75]
	;; [unrolled: 1-line block ×3, first 2 shown]
	v_fma_f64 v[60:61], v[60:61], v[106:107], -v[134:135]
	v_fma_f64 v[48:49], v[48:49], v[114:115], -v[138:139]
	v_fma_f64 v[50:51], v[50:51], v[114:115], v[116:117]
	v_fma_f64 v[44:45], v[44:45], v[122:123], -v[142:143]
	v_fma_f64 v[46:47], v[46:47], v[122:123], v[124:125]
	v_add_f64 v[91:92], v[74:75], -v[54:55]
	v_add_f64 v[93:94], v[66:67], -v[58:59]
	;; [unrolled: 1-line block ×7, first 2 shown]
	v_add_f64 v[118:119], v[74:75], v[54:55]
	v_add_f64 v[74:75], v[66:67], -v[74:75]
	v_add_f64 v[122:123], v[76:77], v[68:69]
	v_add_f64 v[64:65], v[87:88], v[64:65]
	v_fma_f64 v[87:88], v[89:90], -0.5, v[40:41]
	v_add_f64 v[89:90], v[98:99], v[100:101]
	v_fma_f64 v[40:41], v[102:103], -0.5, v[40:41]
	v_add_f64 v[66:67], v[108:109], v[66:67]
	v_fma_f64 v[100:101], v[110:111], -0.5, v[42:43]
	v_add_f64 v[116:117], v[54:55], -v[58:59]
	v_add_f64 v[120:121], v[58:59], -v[54:55]
	v_add_f64 v[98:99], v[104:105], v[106:107]
	v_fma_f64 v[42:43], v[118:119], -0.5, v[42:43]
	v_add_f64 v[104:105], v[122:123], v[60:61]
	v_add_f64 v[56:57], v[64:65], v[56:57]
	v_fma_f64 v[64:65], v[91:92], s[4:5], v[87:88]
	v_fma_f64 v[87:88], v[91:92], s[14:15], v[87:88]
	;; [unrolled: 1-line block ×4, first 2 shown]
	v_add_f64 v[58:59], v[66:67], v[58:59]
	v_fma_f64 v[66:67], v[72:73], s[14:15], v[100:101]
	v_add_f64 v[124:125], v[60:61], v[48:49]
	v_add_f64 v[136:137], v[62:63], v[50:51]
	;; [unrolled: 1-line block ×4, first 2 shown]
	v_fma_f64 v[100:101], v[72:73], s[4:5], v[100:101]
	v_fma_f64 v[114:115], v[112:113], s[4:5], v[42:43]
	;; [unrolled: 1-line block ×3, first 2 shown]
	v_add_f64 v[104:105], v[104:105], v[48:49]
	v_add_f64 v[120:121], v[56:57], v[52:53]
	v_fma_f64 v[52:53], v[93:94], s[6:7], v[64:65]
	v_fma_f64 v[56:57], v[93:94], s[16:17], v[87:88]
	v_fma_f64 v[64:65], v[91:92], s[6:7], v[110:111]
	v_fma_f64 v[40:41], v[91:92], s[16:17], v[40:41]
	v_add_f64 v[87:88], v[58:59], v[54:55]
	v_fma_f64 v[54:55], v[112:113], s[16:17], v[66:67]
	v_add_f64 v[126:127], v[70:71], -v[46:47]
	v_fma_f64 v[106:107], v[124:125], -0.5, v[76:77]
	v_fma_f64 v[58:59], v[112:113], s[6:7], v[100:101]
	v_fma_f64 v[66:67], v[72:73], s[16:17], v[114:115]
	;; [unrolled: 1-line block ×3, first 2 shown]
	v_add_f64 v[72:73], v[104:105], v[44:45]
	v_fma_f64 v[93:94], v[89:90], s[8:9], v[52:53]
	v_fma_f64 v[100:101], v[98:99], s[8:9], v[64:65]
	;; [unrolled: 1-line block ×4, first 2 shown]
	v_add_f64 v[40:41], v[70:71], v[46:47]
	v_fma_f64 v[52:53], v[136:137], -0.5, v[78:79]
	v_add_f64 v[54:55], v[68:69], -v[44:45]
	v_add_f64 v[128:129], v[62:63], -v[50:51]
	;; [unrolled: 1-line block ×4, first 2 shown]
	v_add_f64 v[134:135], v[68:69], v[44:45]
	v_fma_f64 v[116:117], v[126:127], s[4:5], v[106:107]
	v_fma_f64 v[110:111], v[74:75], s[8:9], v[66:67]
	v_add_f64 v[64:65], v[78:79], v[70:71]
	v_add_f64 v[66:67], v[60:61], -v[48:49]
	v_fma_f64 v[40:41], v[40:41], -0.5, v[78:79]
	v_add_f64 v[60:61], v[60:61], -v[68:69]
	v_add_f64 v[44:45], v[48:49], -v[44:45]
	v_fma_f64 v[48:49], v[54:55], s[14:15], v[52:53]
	v_add_f64 v[68:69], v[70:71], -v[62:63]
	v_add_f64 v[78:79], v[46:47], -v[50:51]
	v_add_f64 v[108:109], v[130:131], v[132:133]
	v_fma_f64 v[76:77], v[134:135], -0.5, v[76:77]
	v_fma_f64 v[91:92], v[128:129], s[6:7], v[116:117]
	v_add_f64 v[64:65], v[64:65], v[62:63]
	v_fma_f64 v[106:107], v[126:127], s[14:15], v[106:107]
	v_fma_f64 v[48:49], v[66:67], s[16:17], v[48:49]
	;; [unrolled: 1-line block ×3, first 2 shown]
	v_add_f64 v[68:69], v[68:69], v[78:79]
	v_add_f64 v[62:63], v[62:63], -v[70:71]
	v_fma_f64 v[118:119], v[128:129], s[14:15], v[76:77]
	v_fma_f64 v[42:43], v[108:109], s[8:9], v[91:92]
	;; [unrolled: 1-line block ×4, first 2 shown]
	v_add_f64 v[70:71], v[50:51], -v[46:47]
	v_fma_f64 v[40:41], v[66:67], s[14:15], v[40:41]
	v_fma_f64 v[52:53], v[54:55], s[4:5], v[52:53]
	v_add_f64 v[50:51], v[64:65], v[50:51]
	v_fma_f64 v[48:49], v[68:69], s[8:9], v[48:49]
	v_fma_f64 v[89:90], v[89:90], s[8:9], v[56:57]
	v_fma_f64 v[102:103], v[102:103], s[8:9], v[58:59]
	v_fma_f64 v[56:57], v[128:129], s[16:17], v[106:107]
	v_fma_f64 v[58:59], v[126:127], s[6:7], v[118:119]
	v_add_f64 v[44:45], v[60:61], v[44:45]
	v_fma_f64 v[60:61], v[126:127], s[16:17], v[76:77]
	v_fma_f64 v[76:77], v[54:55], s[16:17], v[91:92]
	v_add_f64 v[62:63], v[62:63], v[70:71]
	v_fma_f64 v[40:41], v[54:55], s[6:7], v[40:41]
	v_fma_f64 v[52:53], v[66:67], s[6:7], v[52:53]
	v_add_f64 v[66:67], v[50:51], v[46:47]
	v_mul_f64 v[46:47], v[48:49], s[6:7]
	v_fma_f64 v[54:55], v[108:109], s[8:9], v[56:57]
	v_fma_f64 v[56:57], v[44:45], s[8:9], v[58:59]
	;; [unrolled: 1-line block ×6, first 2 shown]
	v_add_f64 v[40:41], v[120:121], v[72:73]
	v_fma_f64 v[68:69], v[42:43], s[18:19], v[46:47]
	v_mul_f64 v[42:43], v[42:43], s[16:17]
	v_mul_f64 v[46:47], v[56:57], s[14:15]
	v_mul_f64 v[62:63], v[58:59], s[8:9]
	v_mul_f64 v[52:53], v[60:61], s[4:5]
	v_mul_f64 v[70:71], v[50:51], s[8:9]
	v_mul_f64 v[64:65], v[54:55], s[18:19]
	v_mul_f64 v[76:77], v[44:45], s[18:19]
	v_fma_f64 v[106:107], v[48:49], s[18:19], v[42:43]
	v_fma_f64 v[108:109], v[60:61], s[8:9], v[46:47]
	v_fma_f64 v[62:63], v[50:51], s[4:5], -v[62:63]
	v_fma_f64 v[78:79], v[56:57], s[8:9], v[52:53]
	v_fma_f64 v[112:113], v[58:59], s[14:15], -v[70:71]
	v_fma_f64 v[91:92], v[44:45], s[6:7], -v[64:65]
	v_fma_f64 v[114:115], v[54:55], s[16:17], -v[76:77]
	v_add_f64 v[42:43], v[87:88], v[66:67]
	v_add_f64 v[44:45], v[93:94], v[68:69]
	;; [unrolled: 1-line block ×9, first 2 shown]
	v_add_f64 v[60:61], v[120:121], -v[72:73]
	v_add_f64 v[72:73], v[98:99], -v[62:63]
	;; [unrolled: 1-line block ×10, first 2 shown]
	ds_write_b128 v97, v[40:43]
	ds_write_b128 v97, v[44:47] offset:2560
	ds_write_b128 v97, v[48:51] offset:5120
	;; [unrolled: 1-line block ×9, first 2 shown]
	s_and_saveexec_b64 s[20:21], vcc
	s_cbranch_execz .LBB0_19
; %bb.18:
	v_subrev_u32_e32 v40, 60, v82
	v_cndmask_b32_e32 v40, v40, v86, vcc
	v_mul_i32_i24_e32 v40, 9, v40
	v_mov_b32_e32 v41, 0
	v_lshlrev_b64 v[40:41], 4, v[40:41]
	v_mov_b32_e32 v42, s13
	v_add_co_u32_e32 v76, vcc, s12, v40
	v_addc_co_u32_e32 v77, vcc, v42, v41, vcc
	global_load_dwordx4 v[40:43], v[76:77], off offset:2416
	global_load_dwordx4 v[44:47], v[76:77], off offset:2448
	global_load_dwordx4 v[48:51], v[76:77], off offset:2512
	global_load_dwordx4 v[52:55], v[76:77], off offset:2480
	global_load_dwordx4 v[56:59], v[76:77], off offset:2432
	global_load_dwordx4 v[60:63], v[76:77], off offset:2464
	global_load_dwordx4 v[64:67], v[76:77], off offset:2528
	global_load_dwordx4 v[68:71], v[76:77], off offset:2496
	global_load_dwordx4 v[72:75], v[76:77], off offset:2400
	s_waitcnt vmcnt(8)
	v_mul_f64 v[76:77], v[24:25], v[42:43]
	s_waitcnt vmcnt(7)
	v_mul_f64 v[78:79], v[32:33], v[46:47]
	;; [unrolled: 2-line block ×8, first 2 shown]
	v_mul_f64 v[62:63], v[36:37], v[62:63]
	v_mul_f64 v[70:71], v[4:5], v[70:71]
	;; [unrolled: 1-line block ×6, first 2 shown]
	s_waitcnt vmcnt(0)
	v_mul_f64 v[102:103], v[22:23], v[74:75]
	v_mul_f64 v[58:59], v[28:29], v[58:59]
	;; [unrolled: 1-line block ×4, first 2 shown]
	v_fma_f64 v[26:27], v[26:27], v[40:41], v[76:77]
	v_fma_f64 v[34:35], v[34:35], v[44:45], v[78:79]
	;; [unrolled: 1-line block ×4, first 2 shown]
	v_fma_f64 v[28:29], v[28:29], v[56:57], -v[91:92]
	v_fma_f64 v[36:37], v[36:37], v[60:61], -v[93:94]
	;; [unrolled: 1-line block ×4, first 2 shown]
	v_fma_f64 v[38:39], v[38:39], v[60:61], v[62:63]
	v_fma_f64 v[6:7], v[6:7], v[68:69], v[70:71]
	v_fma_f64 v[0:1], v[0:1], v[52:53], -v[54:55]
	v_fma_f64 v[24:25], v[24:25], v[40:41], -v[42:43]
	;; [unrolled: 1-line block ×4, first 2 shown]
	v_fma_f64 v[30:31], v[30:31], v[56:57], v[58:59]
	v_fma_f64 v[14:15], v[14:15], v[64:65], v[66:67]
	;; [unrolled: 1-line block ×3, first 2 shown]
	v_add_f64 v[40:41], v[26:27], -v[34:35]
	v_add_f64 v[42:43], v[10:11], -v[2:3]
	v_add_f64 v[48:49], v[34:35], v[2:3]
	v_add_f64 v[50:51], v[28:29], -v[36:37]
	v_add_f64 v[52:53], v[12:13], -v[4:5]
	v_add_f64 v[54:55], v[36:37], v[4:5]
	v_add_f64 v[66:67], v[38:39], v[6:7]
	v_fma_f64 v[32:33], v[32:33], v[44:45], -v[46:47]
	v_add_f64 v[46:47], v[24:25], -v[8:9]
	v_add_f64 v[56:57], v[30:31], -v[14:15]
	;; [unrolled: 1-line block ×5, first 2 shown]
	v_add_f64 v[74:75], v[26:27], v[10:11]
	v_add_f64 v[76:77], v[36:37], -v[28:29]
	v_add_f64 v[78:79], v[4:5], -v[12:13]
	v_add_f64 v[87:88], v[28:29], v[12:13]
	v_add_f64 v[89:90], v[38:39], -v[30:31]
	v_add_f64 v[93:94], v[30:31], v[14:15]
	v_add_f64 v[30:31], v[22:23], v[30:31]
	;; [unrolled: 1-line block ×3, first 2 shown]
	v_fma_f64 v[42:43], v[48:49], -0.5, v[18:19]
	v_add_f64 v[48:49], v[50:51], v[52:53]
	v_fma_f64 v[50:51], v[54:55], -0.5, v[20:21]
	v_fma_f64 v[54:55], v[66:67], -0.5, v[22:23]
	v_add_f64 v[44:45], v[32:33], -v[0:1]
	v_add_f64 v[58:59], v[38:39], -v[6:7]
	;; [unrolled: 1-line block ×6, first 2 shown]
	v_add_f64 v[98:99], v[18:19], v[26:27]
	v_add_f64 v[52:53], v[60:61], v[62:63]
	v_fma_f64 v[18:19], v[74:75], -0.5, v[18:19]
	v_add_f64 v[62:63], v[76:77], v[78:79]
	v_fma_f64 v[66:67], v[87:88], -0.5, v[20:21]
	v_fma_f64 v[22:23], v[93:94], -0.5, v[22:23]
	v_add_f64 v[30:31], v[30:31], v[38:39]
	v_fma_f64 v[74:75], v[46:47], s[4:5], v[42:43]
	v_fma_f64 v[78:79], v[68:69], s[4:5], v[54:55]
	v_add_f64 v[106:107], v[34:35], -v[2:3]
	v_add_f64 v[110:111], v[24:25], v[8:9]
	v_add_f64 v[60:61], v[70:71], v[72:73]
	;; [unrolled: 1-line block ×4, first 2 shown]
	v_fma_f64 v[76:77], v[56:57], s[14:15], v[50:51]
	v_fma_f64 v[87:88], v[44:45], s[14:15], v[18:19]
	;; [unrolled: 1-line block ×7, first 2 shown]
	v_add_f64 v[6:7], v[30:31], v[6:7]
	v_fma_f64 v[30:31], v[44:45], s[6:7], v[74:75]
	v_fma_f64 v[74:75], v[64:65], s[6:7], v[78:79]
	v_add_f64 v[104:105], v[32:33], v[0:1]
	v_fma_f64 v[72:73], v[110:111], -0.5, v[16:17]
	v_fma_f64 v[42:43], v[46:47], s[14:15], v[42:43]
	v_fma_f64 v[54:55], v[68:69], s[14:15], v[54:55]
	v_fma_f64 v[50:51], v[56:57], s[4:5], v[50:51]
	v_add_f64 v[2:3], v[34:35], v[2:3]
	v_fma_f64 v[34:35], v[58:59], s[16:17], v[76:77]
	v_fma_f64 v[76:77], v[46:47], s[6:7], v[87:88]
	v_fma_f64 v[78:79], v[56:57], s[16:17], v[89:90]
	v_fma_f64 v[87:88], v[68:69], s[6:7], v[91:92]
	v_fma_f64 v[18:19], v[46:47], s[16:17], v[18:19]
	v_fma_f64 v[46:47], v[56:57], s[6:7], v[66:67]
	v_fma_f64 v[22:23], v[68:69], s[16:17], v[22:23]
	v_fma_f64 v[56:57], v[52:53], s[8:9], v[74:75]
	v_fma_f64 v[38:39], v[104:105], -0.5, v[16:17]
	v_add_f64 v[16:17], v[16:17], v[24:25]
	v_add_f64 v[20:21], v[20:21], v[28:29]
	v_add_f64 v[26:27], v[26:27], -v[10:11]
	v_add_f64 v[108:109], v[32:33], -v[24:25]
	v_fma_f64 v[50:51], v[58:59], s[6:7], v[50:51]
	v_fma_f64 v[42:43], v[44:45], s[16:17], v[42:43]
	;; [unrolled: 1-line block ×3, first 2 shown]
	v_add_f64 v[54:55], v[2:3], v[10:11]
	v_fma_f64 v[58:59], v[70:71], s[8:9], v[87:88]
	v_fma_f64 v[34:35], v[48:49], s[8:9], v[34:35]
	;; [unrolled: 1-line block ×3, first 2 shown]
	v_mul_f64 v[2:3], v[56:57], s[18:19]
	v_fma_f64 v[64:65], v[60:61], s[8:9], v[76:77]
	v_add_f64 v[70:71], v[0:1], -v[8:9]
	v_fma_f64 v[76:77], v[106:107], s[4:5], v[72:73]
	v_fma_f64 v[46:47], v[62:63], s[8:9], v[46:47]
	v_add_f64 v[16:17], v[16:17], v[32:33]
	v_add_f64 v[20:21], v[20:21], v[36:37]
	v_add_f64 v[100:101], v[24:25], -v[32:33]
	v_add_f64 v[102:103], v[8:9], -v[0:1]
	v_fma_f64 v[50:51], v[48:49], s[8:9], v[50:51]
	v_fma_f64 v[48:49], v[62:63], s[8:9], v[78:79]
	;; [unrolled: 1-line block ×3, first 2 shown]
	v_mul_f64 v[10:11], v[58:59], s[8:9]
	v_fma_f64 v[30:31], v[40:41], s[8:9], v[30:31]
	v_fma_f64 v[40:41], v[40:41], s[8:9], v[42:43]
	v_fma_f64 v[42:43], v[34:35], s[16:17], -v[2:3]
	v_fma_f64 v[74:75], v[26:27], s[14:15], v[38:39]
	v_mul_f64 v[24:25], v[34:35], s[18:19]
	v_add_f64 v[28:29], v[108:109], v[70:71]
	v_fma_f64 v[34:35], v[26:27], s[16:17], v[76:77]
	v_fma_f64 v[38:39], v[26:27], s[4:5], v[38:39]
	v_mul_f64 v[52:53], v[46:47], s[14:15]
	v_fma_f64 v[70:71], v[106:107], s[14:15], v[72:73]
	v_add_f64 v[16:17], v[16:17], v[0:1]
	v_add_f64 v[20:21], v[20:21], v[4:5]
	v_mul_f64 v[62:63], v[50:51], s[16:17]
	v_fma_f64 v[66:67], v[48:49], s[14:15], -v[10:11]
	v_add_f64 v[78:79], v[100:101], v[102:103]
	v_mul_f64 v[48:49], v[48:49], s[8:9]
	v_fma_f64 v[56:57], v[56:57], s[6:7], -v[24:25]
	v_fma_f64 v[24:25], v[28:29], s[8:9], v[34:35]
	v_fma_f64 v[32:33], v[106:107], s[6:7], v[38:39]
	v_mul_f64 v[34:35], v[44:45], s[6:7]
	v_fma_f64 v[52:53], v[22:23], s[8:9], v[52:53]
	v_fma_f64 v[26:27], v[26:27], s[6:7], v[70:71]
	v_mul_f64 v[22:23], v[22:23], s[4:5]
	v_fma_f64 v[74:75], v[106:107], s[16:17], v[74:75]
	v_add_f64 v[68:69], v[6:7], v[14:15]
	v_add_f64 v[8:9], v[16:17], v[8:9]
	;; [unrolled: 1-line block ×3, first 2 shown]
	v_fma_f64 v[62:63], v[44:45], s[18:19], v[62:63]
	v_fma_f64 v[48:49], v[58:59], s[4:5], -v[48:49]
	v_fma_f64 v[58:59], v[78:79], s[8:9], v[32:33]
	v_fma_f64 v[50:51], v[50:51], s[18:19], v[34:35]
	;; [unrolled: 1-line block ×6, first 2 shown]
	v_add_f64 v[38:39], v[54:55], v[68:69]
	v_add_f64 v[36:37], v[8:9], v[12:13]
	;; [unrolled: 1-line block ×4, first 2 shown]
	v_add_f64 v[2:3], v[30:31], -v[42:43]
	v_add_f64 v[22:23], v[30:31], v[42:43]
	v_add_f64 v[30:31], v[60:61], v[52:53]
	;; [unrolled: 1-line block ×3, first 2 shown]
	v_add_f64 v[4:5], v[24:25], -v[48:49]
	v_add_f64 v[26:27], v[64:65], v[66:67]
	v_add_f64 v[24:25], v[24:25], v[48:49]
	;; [unrolled: 1-line block ×3, first 2 shown]
	v_add_f64 v[18:19], v[54:55], -v[68:69]
	v_add_f64 v[16:17], v[8:9], -v[12:13]
	;; [unrolled: 1-line block ×8, first 2 shown]
	ds_write_b128 v97, v[36:39] offset:1600
	ds_write_b128 v97, v[32:35] offset:4160
	;; [unrolled: 1-line block ×10, first 2 shown]
.LBB0_19:
	s_or_b64 exec, exec, s[20:21]
	s_waitcnt lgkmcnt(0)
	s_barrier
	ds_read_b128 v[4:7], v96
	s_add_u32 s6, s12, 0x6360
	s_addc_u32 s7, s13, 0
	v_sub_u32_e32 v14, v95, v83
	v_cmp_ne_u32_e32 vcc, 0, v82
                                        ; implicit-def: $vgpr0_vgpr1
                                        ; implicit-def: $vgpr8_vgpr9
                                        ; implicit-def: $vgpr10_vgpr11
                                        ; implicit-def: $vgpr12_vgpr13
	s_and_saveexec_b64 s[4:5], vcc
	s_xor_b64 s[4:5], exec, s[4:5]
	s_cbranch_execz .LBB0_21
; %bb.20:
	v_mov_b32_e32 v83, 0
	v_lshlrev_b64 v[0:1], 4, v[82:83]
	v_mov_b32_e32 v2, s7
	v_add_co_u32_e32 v0, vcc, s6, v0
	v_addc_co_u32_e32 v1, vcc, v2, v1, vcc
	global_load_dwordx4 v[15:18], v[0:1], off
	ds_read_b128 v[0:3], v14 offset:25600
	s_waitcnt lgkmcnt(0)
	v_add_f64 v[8:9], v[4:5], -v[0:1]
	v_add_f64 v[10:11], v[6:7], v[2:3]
	v_add_f64 v[2:3], v[6:7], -v[2:3]
	v_add_f64 v[0:1], v[4:5], v[0:1]
	v_mul_f64 v[6:7], v[8:9], 0.5
	v_mul_f64 v[4:5], v[10:11], 0.5
	;; [unrolled: 1-line block ×3, first 2 shown]
	s_waitcnt vmcnt(0)
	v_mul_f64 v[8:9], v[6:7], v[17:18]
	v_fma_f64 v[10:11], v[4:5], v[17:18], v[2:3]
	v_fma_f64 v[2:3], v[4:5], v[17:18], -v[2:3]
	v_fma_f64 v[12:13], v[0:1], 0.5, v[8:9]
	v_fma_f64 v[0:1], v[0:1], 0.5, -v[8:9]
	v_fma_f64 v[10:11], -v[15:16], v[6:7], v[10:11]
	v_fma_f64 v[2:3], -v[15:16], v[6:7], v[2:3]
	v_fma_f64 v[8:9], v[4:5], v[15:16], v[12:13]
	v_mov_b32_e32 v12, v82
	v_fma_f64 v[0:1], -v[4:5], v[15:16], v[0:1]
	v_mov_b32_e32 v13, v83
                                        ; implicit-def: $vgpr4_vgpr5
.LBB0_21:
	s_andn2_saveexec_b64 s[4:5], s[4:5]
	s_cbranch_execz .LBB0_23
; %bb.22:
	s_waitcnt lgkmcnt(0)
	v_add_f64 v[8:9], v[4:5], v[6:7]
	ds_read_b64 v[2:3], v95 offset:12808
	v_add_f64 v[0:1], v[4:5], -v[6:7]
	v_mov_b32_e32 v10, 0
	v_mov_b32_e32 v11, 0
	;; [unrolled: 1-line block ×3, first 2 shown]
	s_waitcnt lgkmcnt(0)
	v_xor_b32_e32 v3, 0x80000000, v3
	ds_write_b64 v95, v[2:3] offset:12808
	v_mov_b32_e32 v2, v10
	v_mov_b32_e32 v13, 0
	;; [unrolled: 1-line block ×3, first 2 shown]
.LBB0_23:
	s_or_b64 exec, exec, s[4:5]
	v_mov_b32_e32 v87, 0
	s_waitcnt lgkmcnt(0)
	v_lshlrev_b64 v[4:5], 4, v[86:87]
	v_mov_b32_e32 v6, s7
	v_add_co_u32_e32 v4, vcc, s6, v4
	v_addc_co_u32_e32 v5, vcc, v6, v5, vcc
	global_load_dwordx4 v[4:7], v[4:5], off
	v_lshlrev_b64 v[12:13], 4, v[12:13]
	v_mov_b32_e32 v15, s7
	v_add_co_u32_e32 v12, vcc, s6, v12
	v_addc_co_u32_e32 v13, vcc, v15, v13, vcc
	global_load_dwordx4 v[15:18], v[12:13], off offset:3200
	ds_write2_b64 v96, v[8:9], v[10:11] offset1:1
	ds_write_b128 v14, v[0:3] offset:25600
	v_lshl_add_u32 v27, v86, 4, v95
	ds_read_b128 v[0:3], v27
	ds_read_b128 v[8:11], v14 offset:24000
	s_movk_i32 s4, 0x1000
	v_add_co_u32_e32 v25, vcc, s4, v12
	v_addc_co_u32_e32 v26, vcc, 0, v13, vcc
	s_waitcnt lgkmcnt(0)
	v_add_f64 v[19:20], v[0:1], -v[8:9]
	v_add_f64 v[21:22], v[2:3], v[10:11]
	v_add_f64 v[2:3], v[2:3], -v[10:11]
	v_add_f64 v[0:1], v[0:1], v[8:9]
	s_movk_i32 s4, 0x2000
	v_add_co_u32_e32 v12, vcc, s4, v12
	v_addc_co_u32_e32 v13, vcc, 0, v13, vcc
	v_mul_f64 v[10:11], v[19:20], 0.5
	v_mul_f64 v[19:20], v[21:22], 0.5
	v_mul_f64 v[2:3], v[2:3], 0.5
	s_waitcnt vmcnt(1)
	v_mul_f64 v[8:9], v[10:11], v[6:7]
	v_fma_f64 v[21:22], v[19:20], v[6:7], v[2:3]
	v_fma_f64 v[6:7], v[19:20], v[6:7], -v[2:3]
	v_fma_f64 v[23:24], v[0:1], 0.5, v[8:9]
	v_fma_f64 v[8:9], v[0:1], 0.5, -v[8:9]
	global_load_dwordx4 v[0:3], v[25:26], off offset:704
	v_fma_f64 v[21:22], -v[4:5], v[10:11], v[21:22]
	v_fma_f64 v[6:7], -v[4:5], v[10:11], v[6:7]
	v_fma_f64 v[10:11], v[19:20], v[4:5], v[23:24]
	v_fma_f64 v[4:5], -v[19:20], v[4:5], v[8:9]
	ds_write2_b64 v27, v[10:11], v[21:22] offset1:1
	ds_write_b128 v14, v[4:7] offset:24000
	ds_read_b128 v[4:7], v96 offset:3200
	ds_read_b128 v[8:11], v14 offset:22400
	s_waitcnt lgkmcnt(0)
	v_add_f64 v[19:20], v[4:5], -v[8:9]
	v_add_f64 v[21:22], v[6:7], v[10:11]
	v_add_f64 v[6:7], v[6:7], -v[10:11]
	v_add_f64 v[4:5], v[4:5], v[8:9]
	v_mul_f64 v[10:11], v[19:20], 0.5
	v_mul_f64 v[19:20], v[21:22], 0.5
	;; [unrolled: 1-line block ×3, first 2 shown]
	s_waitcnt vmcnt(1)
	v_mul_f64 v[8:9], v[10:11], v[17:18]
	v_fma_f64 v[21:22], v[19:20], v[17:18], v[6:7]
	v_fma_f64 v[17:18], v[19:20], v[17:18], -v[6:7]
	v_fma_f64 v[23:24], v[4:5], 0.5, v[8:9]
	v_fma_f64 v[8:9], v[4:5], 0.5, -v[8:9]
	global_load_dwordx4 v[4:7], v[25:26], off offset:2304
	v_fma_f64 v[21:22], -v[15:16], v[10:11], v[21:22]
	v_fma_f64 v[10:11], -v[15:16], v[10:11], v[17:18]
	v_fma_f64 v[17:18], v[19:20], v[15:16], v[23:24]
	v_fma_f64 v[8:9], -v[19:20], v[15:16], v[8:9]
	v_add_u32_e32 v15, 0x800, v96
	ds_write2_b64 v15, v[17:18], v[21:22] offset0:144 offset1:145
	ds_write_b128 v14, v[8:11] offset:22400
	ds_read_b128 v[8:11], v96 offset:4800
	ds_read_b128 v[15:18], v14 offset:20800
	s_waitcnt lgkmcnt(0)
	v_add_f64 v[19:20], v[8:9], -v[15:16]
	v_add_f64 v[21:22], v[10:11], v[17:18]
	v_add_f64 v[10:11], v[10:11], -v[17:18]
	v_add_f64 v[8:9], v[8:9], v[15:16]
	v_mul_f64 v[17:18], v[19:20], 0.5
	v_mul_f64 v[19:20], v[21:22], 0.5
	;; [unrolled: 1-line block ×3, first 2 shown]
	s_waitcnt vmcnt(1)
	v_mul_f64 v[15:16], v[17:18], v[2:3]
	v_fma_f64 v[21:22], v[19:20], v[2:3], v[10:11]
	v_fma_f64 v[2:3], v[19:20], v[2:3], -v[10:11]
	v_fma_f64 v[23:24], v[8:9], 0.5, v[15:16]
	v_fma_f64 v[15:16], v[8:9], 0.5, -v[15:16]
	global_load_dwordx4 v[8:11], v[25:26], off offset:3904
	v_fma_f64 v[21:22], -v[0:1], v[17:18], v[21:22]
	v_fma_f64 v[2:3], -v[0:1], v[17:18], v[2:3]
	v_add_u32_e32 v25, 0x1800, v96
	v_fma_f64 v[17:18], v[19:20], v[0:1], v[23:24]
	v_fma_f64 v[0:1], -v[19:20], v[0:1], v[15:16]
	v_add_u32_e32 v15, 0x1000, v96
	ds_write2_b64 v15, v[17:18], v[21:22] offset0:88 offset1:89
	ds_write_b128 v14, v[0:3] offset:20800
	ds_read_b128 v[0:3], v96 offset:6400
	ds_read_b128 v[15:18], v14 offset:19200
	s_waitcnt lgkmcnt(0)
	v_add_f64 v[19:20], v[0:1], -v[15:16]
	v_add_f64 v[21:22], v[2:3], v[17:18]
	v_add_f64 v[2:3], v[2:3], -v[17:18]
	v_add_f64 v[0:1], v[0:1], v[15:16]
	v_mul_f64 v[17:18], v[19:20], 0.5
	v_mul_f64 v[19:20], v[21:22], 0.5
	;; [unrolled: 1-line block ×3, first 2 shown]
	s_waitcnt vmcnt(1)
	v_mul_f64 v[15:16], v[17:18], v[6:7]
	v_fma_f64 v[21:22], v[19:20], v[6:7], v[2:3]
	v_fma_f64 v[6:7], v[19:20], v[6:7], -v[2:3]
	v_fma_f64 v[23:24], v[0:1], 0.5, v[15:16]
	v_fma_f64 v[15:16], v[0:1], 0.5, -v[15:16]
	global_load_dwordx4 v[0:3], v[12:13], off offset:1408
	v_fma_f64 v[21:22], -v[4:5], v[17:18], v[21:22]
	v_fma_f64 v[6:7], -v[4:5], v[17:18], v[6:7]
	v_fma_f64 v[17:18], v[19:20], v[4:5], v[23:24]
	v_fma_f64 v[4:5], -v[19:20], v[4:5], v[15:16]
	ds_write2_b64 v25, v[17:18], v[21:22] offset0:32 offset1:33
	ds_write_b128 v14, v[4:7] offset:19200
	ds_read_b128 v[4:7], v96 offset:8000
	ds_read_b128 v[15:18], v14 offset:17600
	s_waitcnt lgkmcnt(0)
	v_add_f64 v[19:20], v[4:5], -v[15:16]
	v_add_f64 v[21:22], v[6:7], v[17:18]
	v_add_f64 v[6:7], v[6:7], -v[17:18]
	v_add_f64 v[4:5], v[4:5], v[15:16]
	v_mul_f64 v[17:18], v[19:20], 0.5
	v_mul_f64 v[19:20], v[21:22], 0.5
	v_mul_f64 v[6:7], v[6:7], 0.5
	s_waitcnt vmcnt(1)
	v_mul_f64 v[15:16], v[17:18], v[10:11]
	v_fma_f64 v[21:22], v[19:20], v[10:11], v[6:7]
	v_fma_f64 v[10:11], v[19:20], v[10:11], -v[6:7]
	v_fma_f64 v[23:24], v[4:5], 0.5, v[15:16]
	v_fma_f64 v[15:16], v[4:5], 0.5, -v[15:16]
	global_load_dwordx4 v[4:7], v[12:13], off offset:3008
	v_fma_f64 v[12:13], -v[8:9], v[17:18], v[21:22]
	v_fma_f64 v[10:11], -v[8:9], v[17:18], v[10:11]
	v_fma_f64 v[17:18], v[19:20], v[8:9], v[23:24]
	v_fma_f64 v[8:9], -v[19:20], v[8:9], v[15:16]
	ds_write2_b64 v25, v[17:18], v[12:13] offset0:232 offset1:233
	ds_write_b128 v14, v[8:11] offset:17600
	ds_read_b128 v[8:11], v96 offset:9600
	ds_read_b128 v[15:18], v14 offset:16000
	s_waitcnt lgkmcnt(0)
	v_add_f64 v[12:13], v[8:9], -v[15:16]
	v_add_f64 v[19:20], v[10:11], v[17:18]
	v_add_f64 v[10:11], v[10:11], -v[17:18]
	v_add_f64 v[8:9], v[8:9], v[15:16]
	v_mul_f64 v[12:13], v[12:13], 0.5
	v_mul_f64 v[17:18], v[19:20], 0.5
	;; [unrolled: 1-line block ×3, first 2 shown]
	s_waitcnt vmcnt(1)
	v_mul_f64 v[15:16], v[12:13], v[2:3]
	v_fma_f64 v[19:20], v[17:18], v[2:3], v[10:11]
	v_fma_f64 v[2:3], v[17:18], v[2:3], -v[10:11]
	v_fma_f64 v[10:11], v[8:9], 0.5, v[15:16]
	v_fma_f64 v[8:9], v[8:9], 0.5, -v[15:16]
	v_fma_f64 v[15:16], -v[0:1], v[12:13], v[19:20]
	v_fma_f64 v[2:3], -v[0:1], v[12:13], v[2:3]
	v_fma_f64 v[10:11], v[17:18], v[0:1], v[10:11]
	v_fma_f64 v[0:1], -v[17:18], v[0:1], v[8:9]
	v_add_u32_e32 v8, 0x2000, v96
	ds_write2_b64 v8, v[10:11], v[15:16] offset0:176 offset1:177
	ds_write_b128 v14, v[0:3] offset:16000
	ds_read_b128 v[0:3], v96 offset:11200
	ds_read_b128 v[8:11], v14 offset:14400
	s_waitcnt lgkmcnt(0)
	v_add_f64 v[12:13], v[0:1], -v[8:9]
	v_add_f64 v[15:16], v[2:3], v[10:11]
	v_add_f64 v[2:3], v[2:3], -v[10:11]
	v_add_f64 v[0:1], v[0:1], v[8:9]
	v_mul_f64 v[10:11], v[12:13], 0.5
	v_mul_f64 v[12:13], v[15:16], 0.5
	;; [unrolled: 1-line block ×3, first 2 shown]
	s_waitcnt vmcnt(0)
	v_mul_f64 v[8:9], v[10:11], v[6:7]
	v_fma_f64 v[15:16], v[12:13], v[6:7], v[2:3]
	v_fma_f64 v[2:3], v[12:13], v[6:7], -v[2:3]
	v_fma_f64 v[6:7], v[0:1], 0.5, v[8:9]
	v_fma_f64 v[0:1], v[0:1], 0.5, -v[8:9]
	v_fma_f64 v[8:9], -v[4:5], v[10:11], v[15:16]
	v_fma_f64 v[2:3], -v[4:5], v[10:11], v[2:3]
	v_fma_f64 v[6:7], v[12:13], v[4:5], v[6:7]
	v_fma_f64 v[0:1], -v[12:13], v[4:5], v[0:1]
	v_add_u32_e32 v4, 0x2800, v96
	ds_write2_b64 v4, v[6:7], v[8:9] offset0:120 offset1:121
	ds_write_b128 v14, v[0:3] offset:14400
	s_waitcnt lgkmcnt(0)
	s_barrier
	s_and_saveexec_b64 s[4:5], s[0:1]
	s_cbranch_execz .LBB0_26
; %bb.24:
	v_mul_lo_u32 v0, s3, v84
	v_mul_lo_u32 v3, s2, v85
	v_mad_u64_u32 v[1:2], s[0:1], s2, v84, 0
	v_mov_b32_e32 v7, s11
	v_mov_b32_e32 v83, v87
	v_add3_u32 v2, v2, v3, v0
	v_lshlrev_b64 v[1:2], 4, v[1:2]
	v_lshl_add_u32 v0, v82, 4, v95
	v_add_co_u32_e32 v1, vcc, s10, v1
	v_addc_co_u32_e32 v9, vcc, v7, v2, vcc
	v_lshlrev_b64 v[7:8], 4, v[80:81]
	ds_read_b128 v[3:6], v0
	v_add_co_u32_e32 v2, vcc, v1, v7
	v_addc_co_u32_e32 v1, vcc, v9, v8, vcc
	v_lshlrev_b64 v[7:8], 4, v[82:83]
	v_add_u32_e32 v86, 0x64, v82
	v_add_co_u32_e32 v11, vcc, v2, v7
	v_addc_co_u32_e32 v12, vcc, v1, v8, vcc
	ds_read_b128 v[7:10], v0 offset:1600
	s_waitcnt lgkmcnt(1)
	global_store_dwordx4 v[11:12], v[3:6], off
	s_movk_i32 s0, 0x63
	v_lshlrev_b64 v[3:4], 4, v[86:87]
	v_add_u32_e32 v86, 0xc8, v82
	v_add_co_u32_e32 v3, vcc, v2, v3
	v_addc_co_u32_e32 v4, vcc, v1, v4, vcc
	s_waitcnt lgkmcnt(0)
	global_store_dwordx4 v[3:4], v[7:10], off
	ds_read_b128 v[3:6], v0 offset:3200
	v_lshlrev_b64 v[7:8], 4, v[86:87]
	v_add_u32_e32 v86, 0x12c, v82
	v_add_co_u32_e32 v11, vcc, v2, v7
	v_addc_co_u32_e32 v12, vcc, v1, v8, vcc
	ds_read_b128 v[7:10], v0 offset:4800
	s_waitcnt lgkmcnt(1)
	global_store_dwordx4 v[11:12], v[3:6], off
	s_nop 0
	v_lshlrev_b64 v[3:4], 4, v[86:87]
	v_add_u32_e32 v86, 0x190, v82
	v_add_co_u32_e32 v3, vcc, v2, v3
	v_addc_co_u32_e32 v4, vcc, v1, v4, vcc
	s_waitcnt lgkmcnt(0)
	global_store_dwordx4 v[3:4], v[7:10], off
	ds_read_b128 v[3:6], v0 offset:6400
	v_lshlrev_b64 v[7:8], 4, v[86:87]
	v_add_u32_e32 v86, 0x1f4, v82
	v_add_co_u32_e32 v11, vcc, v2, v7
	v_addc_co_u32_e32 v12, vcc, v1, v8, vcc
	ds_read_b128 v[7:10], v0 offset:8000
	s_waitcnt lgkmcnt(1)
	global_store_dwordx4 v[11:12], v[3:6], off
	s_nop 0
	;; [unrolled: 15-line block ×7, first 2 shown]
	v_lshlrev_b64 v[3:4], 4, v[86:87]
	v_add_co_u32_e32 v3, vcc, v2, v3
	v_addc_co_u32_e32 v4, vcc, v1, v4, vcc
	v_cmp_eq_u32_e32 vcc, s0, v82
	s_waitcnt lgkmcnt(0)
	global_store_dwordx4 v[3:4], v[7:10], off
	s_and_b64 exec, exec, vcc
	s_cbranch_execz .LBB0_26
; %bb.25:
	ds_read_b128 v[3:6], v0 offset:24016
	v_add_co_u32_e32 v0, vcc, 0x6000, v2
	v_addc_co_u32_e32 v1, vcc, 0, v1, vcc
	s_waitcnt lgkmcnt(0)
	global_store_dwordx4 v[0:1], v[3:6], off offset:1024
.LBB0_26:
	s_endpgm
	.section	.rodata,"a",@progbits
	.p2align	6, 0x0
	.amdhsa_kernel fft_rtc_fwd_len1600_factors_10_16_10_wgs_200_tpt_100_halfLds_dp_op_CI_CI_unitstride_sbrr_R2C_dirReg
		.amdhsa_group_segment_fixed_size 0
		.amdhsa_private_segment_fixed_size 0
		.amdhsa_kernarg_size 104
		.amdhsa_user_sgpr_count 6
		.amdhsa_user_sgpr_private_segment_buffer 1
		.amdhsa_user_sgpr_dispatch_ptr 0
		.amdhsa_user_sgpr_queue_ptr 0
		.amdhsa_user_sgpr_kernarg_segment_ptr 1
		.amdhsa_user_sgpr_dispatch_id 0
		.amdhsa_user_sgpr_flat_scratch_init 0
		.amdhsa_user_sgpr_private_segment_size 0
		.amdhsa_uses_dynamic_stack 0
		.amdhsa_system_sgpr_private_segment_wavefront_offset 0
		.amdhsa_system_sgpr_workgroup_id_x 1
		.amdhsa_system_sgpr_workgroup_id_y 0
		.amdhsa_system_sgpr_workgroup_id_z 0
		.amdhsa_system_sgpr_workgroup_info 0
		.amdhsa_system_vgpr_workitem_id 0
		.amdhsa_next_free_vgpr 185
		.amdhsa_next_free_sgpr 28
		.amdhsa_reserve_vcc 1
		.amdhsa_reserve_flat_scratch 0
		.amdhsa_float_round_mode_32 0
		.amdhsa_float_round_mode_16_64 0
		.amdhsa_float_denorm_mode_32 3
		.amdhsa_float_denorm_mode_16_64 3
		.amdhsa_dx10_clamp 1
		.amdhsa_ieee_mode 1
		.amdhsa_fp16_overflow 0
		.amdhsa_exception_fp_ieee_invalid_op 0
		.amdhsa_exception_fp_denorm_src 0
		.amdhsa_exception_fp_ieee_div_zero 0
		.amdhsa_exception_fp_ieee_overflow 0
		.amdhsa_exception_fp_ieee_underflow 0
		.amdhsa_exception_fp_ieee_inexact 0
		.amdhsa_exception_int_div_zero 0
	.end_amdhsa_kernel
	.text
.Lfunc_end0:
	.size	fft_rtc_fwd_len1600_factors_10_16_10_wgs_200_tpt_100_halfLds_dp_op_CI_CI_unitstride_sbrr_R2C_dirReg, .Lfunc_end0-fft_rtc_fwd_len1600_factors_10_16_10_wgs_200_tpt_100_halfLds_dp_op_CI_CI_unitstride_sbrr_R2C_dirReg
                                        ; -- End function
	.section	.AMDGPU.csdata,"",@progbits
; Kernel info:
; codeLenInByte = 13028
; NumSgprs: 32
; NumVgprs: 185
; ScratchSize: 0
; MemoryBound: 0
; FloatMode: 240
; IeeeMode: 1
; LDSByteSize: 0 bytes/workgroup (compile time only)
; SGPRBlocks: 3
; VGPRBlocks: 46
; NumSGPRsForWavesPerEU: 32
; NumVGPRsForWavesPerEU: 185
; Occupancy: 1
; WaveLimiterHint : 1
; COMPUTE_PGM_RSRC2:SCRATCH_EN: 0
; COMPUTE_PGM_RSRC2:USER_SGPR: 6
; COMPUTE_PGM_RSRC2:TRAP_HANDLER: 0
; COMPUTE_PGM_RSRC2:TGID_X_EN: 1
; COMPUTE_PGM_RSRC2:TGID_Y_EN: 0
; COMPUTE_PGM_RSRC2:TGID_Z_EN: 0
; COMPUTE_PGM_RSRC2:TIDIG_COMP_CNT: 0
	.type	__hip_cuid_7b228e3abe7a9f0d,@object ; @__hip_cuid_7b228e3abe7a9f0d
	.section	.bss,"aw",@nobits
	.globl	__hip_cuid_7b228e3abe7a9f0d
__hip_cuid_7b228e3abe7a9f0d:
	.byte	0                               ; 0x0
	.size	__hip_cuid_7b228e3abe7a9f0d, 1

	.ident	"AMD clang version 19.0.0git (https://github.com/RadeonOpenCompute/llvm-project roc-6.4.0 25133 c7fe45cf4b819c5991fe208aaa96edf142730f1d)"
	.section	".note.GNU-stack","",@progbits
	.addrsig
	.addrsig_sym __hip_cuid_7b228e3abe7a9f0d
	.amdgpu_metadata
---
amdhsa.kernels:
  - .args:
      - .actual_access:  read_only
        .address_space:  global
        .offset:         0
        .size:           8
        .value_kind:     global_buffer
      - .offset:         8
        .size:           8
        .value_kind:     by_value
      - .actual_access:  read_only
        .address_space:  global
        .offset:         16
        .size:           8
        .value_kind:     global_buffer
      - .actual_access:  read_only
        .address_space:  global
        .offset:         24
        .size:           8
        .value_kind:     global_buffer
      - .actual_access:  read_only
        .address_space:  global
        .offset:         32
        .size:           8
        .value_kind:     global_buffer
      - .offset:         40
        .size:           8
        .value_kind:     by_value
      - .actual_access:  read_only
        .address_space:  global
        .offset:         48
        .size:           8
        .value_kind:     global_buffer
      - .actual_access:  read_only
        .address_space:  global
        .offset:         56
        .size:           8
        .value_kind:     global_buffer
      - .offset:         64
        .size:           4
        .value_kind:     by_value
      - .actual_access:  read_only
        .address_space:  global
        .offset:         72
        .size:           8
        .value_kind:     global_buffer
      - .actual_access:  read_only
        .address_space:  global
        .offset:         80
        .size:           8
        .value_kind:     global_buffer
      - .actual_access:  read_only
        .address_space:  global
        .offset:         88
        .size:           8
        .value_kind:     global_buffer
      - .actual_access:  write_only
        .address_space:  global
        .offset:         96
        .size:           8
        .value_kind:     global_buffer
    .group_segment_fixed_size: 0
    .kernarg_segment_align: 8
    .kernarg_segment_size: 104
    .language:       OpenCL C
    .language_version:
      - 2
      - 0
    .max_flat_workgroup_size: 200
    .name:           fft_rtc_fwd_len1600_factors_10_16_10_wgs_200_tpt_100_halfLds_dp_op_CI_CI_unitstride_sbrr_R2C_dirReg
    .private_segment_fixed_size: 0
    .sgpr_count:     32
    .sgpr_spill_count: 0
    .symbol:         fft_rtc_fwd_len1600_factors_10_16_10_wgs_200_tpt_100_halfLds_dp_op_CI_CI_unitstride_sbrr_R2C_dirReg.kd
    .uniform_work_group_size: 1
    .uses_dynamic_stack: false
    .vgpr_count:     185
    .vgpr_spill_count: 0
    .wavefront_size: 64
amdhsa.target:   amdgcn-amd-amdhsa--gfx906
amdhsa.version:
  - 1
  - 2
...

	.end_amdgpu_metadata
